;; amdgpu-corpus repo=ROCm/rocFFT kind=compiled arch=gfx1100 opt=O3
	.text
	.amdgcn_target "amdgcn-amd-amdhsa--gfx1100"
	.amdhsa_code_object_version 6
	.protected	bluestein_single_back_len273_dim1_dp_op_CI_CI ; -- Begin function bluestein_single_back_len273_dim1_dp_op_CI_CI
	.globl	bluestein_single_back_len273_dim1_dp_op_CI_CI
	.p2align	8
	.type	bluestein_single_back_len273_dim1_dp_op_CI_CI,@function
bluestein_single_back_len273_dim1_dp_op_CI_CI: ; @bluestein_single_back_len273_dim1_dp_op_CI_CI
; %bb.0:
	s_load_b128 s[16:19], s[0:1], 0x28
	v_mul_u32_u24_e32 v1, 0x13b2, v0
	v_mov_b32_e32 v9, 0
	s_mov_b32 s2, exec_lo
	s_delay_alu instid0(VALU_DEP_2) | instskip(NEXT) | instid1(VALU_DEP_1)
	v_lshrrev_b32_e32 v5, 16, v1
	v_lshl_add_u32 v8, s15, 2, v5
	s_waitcnt lgkmcnt(0)
	s_delay_alu instid0(VALU_DEP_1)
	v_cmpx_gt_u64_e64 s[16:17], v[8:9]
	s_cbranch_execz .LBB0_15
; %bb.1:
	s_clause 0x1
	s_load_b128 s[4:7], s[0:1], 0x18
	s_load_b64 s[2:3], s[0:1], 0x0
	v_mul_lo_u16 v1, v5, 13
	v_and_b32_e32 v5, 3, v5
	s_delay_alu instid0(VALU_DEP_2) | instskip(NEXT) | instid1(VALU_DEP_2)
	v_sub_nc_u16 v4, v0, v1
	v_mul_u32_u24_e32 v169, 0x111, v5
	s_delay_alu instid0(VALU_DEP_2)
	v_and_b32_e32 v110, 0xffff, v4
	v_mov_b32_e32 v6, v8
	scratch_store_b64 off, v[6:7], off offset:92 ; 8-byte Folded Spill
	s_waitcnt lgkmcnt(0)
	s_load_b128 s[8:11], s[4:5], 0x0
	s_waitcnt lgkmcnt(0)
	v_mad_u64_u32 v[0:1], null, s10, v8, 0
	v_mad_u64_u32 v[2:3], null, s8, v110, 0
	s_mul_i32 s5, s9, 21
	s_mul_hi_u32 s10, s8, 21
	s_mul_i32 s4, s8, 21
	s_add_i32 s5, s10, s5
	s_delay_alu instid0(SALU_CYCLE_1) | instskip(NEXT) | instid1(VALU_DEP_1)
	s_lshl_b64 s[12:13], s[4:5], 4
	v_mad_u64_u32 v[6:7], null, s11, v8, v[1:2]
	s_delay_alu instid0(VALU_DEP_1)
	v_mov_b32_e32 v1, v6
	v_lshlrev_b32_e32 v163, 4, v110
	v_mad_u64_u32 v[7:8], null, s9, v110, v[3:4]
	s_clause 0x1
	global_load_b128 v[115:118], v163, s[2:3]
	global_load_b128 v[123:126], v163, s[2:3] offset:336
	v_lshlrev_b64 v[0:1], 4, v[0:1]
	s_clause 0x5
	global_load_b128 v[111:114], v163, s[2:3] offset:672
	global_load_b128 v[119:122], v163, s[2:3] offset:1008
	;; [unrolled: 1-line block ×6, first 2 shown]
	v_mov_b32_e32 v3, v7
	s_clause 0x1
	global_load_b128 v[143:146], v163, s[2:3] offset:2688
	global_load_b128 v[147:150], v163, s[2:3] offset:3024
	v_lshlrev_b64 v[6:7], 4, v[2:3]
	v_add_co_u32 v2, vcc_lo, s18, v0
	v_add_co_ci_u32_e32 v3, vcc_lo, s19, v1, vcc_lo
	s_delay_alu instid0(VALU_DEP_2) | instskip(NEXT) | instid1(VALU_DEP_2)
	v_add_co_u32 v0, vcc_lo, v2, v6
	v_add_co_ci_u32_e32 v1, vcc_lo, v3, v7, vcc_lo
	s_delay_alu instid0(VALU_DEP_2) | instskip(NEXT) | instid1(VALU_DEP_2)
	;; [unrolled: 3-line block ×3, first 2 shown]
	v_add_co_u32 v14, vcc_lo, v10, s12
	v_add_co_ci_u32_e32 v15, vcc_lo, s13, v11, vcc_lo
	s_clause 0x1
	global_load_b128 v[6:9], v[0:1], off
	global_load_b128 v[10:13], v[10:11], off
	v_add_co_u32 v18, vcc_lo, v14, s12
	v_add_co_ci_u32_e32 v19, vcc_lo, s13, v15, vcc_lo
	s_delay_alu instid0(VALU_DEP_2) | instskip(NEXT) | instid1(VALU_DEP_2)
	v_add_co_u32 v0, vcc_lo, v18, s12
	v_add_co_ci_u32_e32 v1, vcc_lo, s13, v19, vcc_lo
	s_clause 0x1
	global_load_b128 v[14:17], v[14:15], off
	global_load_b128 v[18:21], v[18:19], off
	v_add_co_u32 v26, vcc_lo, v0, s12
	v_add_co_ci_u32_e32 v27, vcc_lo, s13, v1, vcc_lo
	global_load_b128 v[22:25], v[0:1], off
	v_add_co_u32 v0, vcc_lo, v26, s12
	v_add_co_ci_u32_e32 v1, vcc_lo, s13, v27, vcc_lo
	;; [unrolled: 3-line block ×8, first 2 shown]
	s_clause 0x1
	global_load_b128 v[159:162], v163, s[2:3] offset:3360
	global_load_b128 v[151:154], v163, s[2:3] offset:3696
	global_load_b128 v[50:53], v[50:51], off
	global_load_b128 v[155:158], v163, s[2:3] offset:4032
	global_load_b128 v[54:57], v[0:1], off
	v_cmp_gt_u16_e32 vcc_lo, 8, v4
	v_or_b32_e32 v4, 0xa0, v110
	s_waitcnt vmcnt(25)
	scratch_store_b128 off, v[115:118], off offset:120 ; 16-byte Folded Spill
	s_waitcnt vmcnt(23)
	s_clause 0x1
	scratch_store_b128 off, v[111:114], off offset:104
	scratch_store_b128 off, v[123:126], off offset:152
	s_waitcnt vmcnt(22)
	scratch_store_b128 off, v[119:122], off offset:136 ; 16-byte Folded Spill
	s_waitcnt vmcnt(21)
	scratch_store_b128 off, v[127:130], off offset:168 ; 16-byte Folded Spill
	;; [unrolled: 2-line block ×7, first 2 shown]
	s_waitcnt vmcnt(15)
	v_mul_f64 v[58:59], v[8:9], v[117:118]
	v_mul_f64 v[60:61], v[6:7], v[117:118]
	s_waitcnt vmcnt(14)
	v_mul_f64 v[62:63], v[12:13], v[125:126]
	v_mul_f64 v[64:65], v[10:11], v[125:126]
	;; [unrolled: 3-line block ×6, first 2 shown]
	v_lshlrev_b32_e32 v134, 4, v169
	s_waitcnt vmcnt(9)
	v_mul_f64 v[82:83], v[32:33], v[137:138]
	v_mul_f64 v[84:85], v[30:31], v[137:138]
	s_delay_alu instid0(VALU_DEP_3)
	v_add_nc_u32_e32 v168, v134, v163
	s_waitcnt vmcnt(8)
	v_mul_f64 v[86:87], v[36:37], v[141:142]
	v_mul_f64 v[88:89], v[34:35], v[141:142]
	s_waitcnt vmcnt(7)
	v_mul_f64 v[90:91], v[40:41], v[145:146]
	v_mul_f64 v[92:93], v[38:39], v[145:146]
	v_fma_f64 v[6:7], v[6:7], v[115:116], v[58:59]
	v_fma_f64 v[8:9], v[8:9], v[115:116], -v[60:61]
	v_fma_f64 v[10:11], v[10:11], v[123:124], v[62:63]
	s_waitcnt vmcnt(6)
	v_mul_f64 v[94:95], v[44:45], v[149:150]
	v_mul_f64 v[96:97], v[42:43], v[149:150]
	v_fma_f64 v[12:13], v[12:13], v[123:124], -v[64:65]
	s_waitcnt vmcnt(4)
	v_mul_f64 v[98:99], v[48:49], v[161:162]
	v_mul_f64 v[100:101], v[46:47], v[161:162]
	s_waitcnt vmcnt(2)
	v_mul_f64 v[102:103], v[52:53], v[153:154]
	v_mul_f64 v[104:105], v[50:51], v[153:154]
	;; [unrolled: 3-line block ×3, first 2 shown]
	v_fma_f64 v[14:15], v[14:15], v[111:112], v[66:67]
	v_fma_f64 v[16:17], v[16:17], v[111:112], -v[68:69]
	v_fma_f64 v[58:59], v[18:19], v[119:120], v[70:71]
	v_fma_f64 v[60:61], v[20:21], v[119:120], -v[72:73]
	;; [unrolled: 2-line block ×4, first 2 shown]
	s_clause 0x2
	scratch_store_b128 off, v[159:162], off offset:296
	scratch_store_b128 off, v[151:154], off offset:264
	;; [unrolled: 1-line block ×3, first 2 shown]
	v_fma_f64 v[30:31], v[30:31], v[135:136], v[82:83]
	v_fma_f64 v[32:33], v[32:33], v[135:136], -v[84:85]
	s_load_b64 s[10:11], s[0:1], 0x38
	s_load_b128 s[4:7], s[6:7], 0x0
	v_add_co_u32 v18, s2, s2, v163
	v_fma_f64 v[34:35], v[34:35], v[139:140], v[86:87]
	v_fma_f64 v[36:37], v[36:37], v[139:140], -v[88:89]
	v_add_co_ci_u32_e64 v19, null, s3, 0, s2
	scratch_store_b32 off, v163, off offset:488 ; 4-byte Folded Spill
	v_fma_f64 v[38:39], v[38:39], v[143:144], v[90:91]
	v_fma_f64 v[40:41], v[40:41], v[143:144], -v[92:93]
	scratch_store_b64 off, v[18:19], off offset:4 ; 8-byte Folded Spill
	ds_store_b128 v168, v[6:9]
	ds_store_b128 v168, v[10:13] offset:336
	ds_store_b128 v168, v[14:17] offset:672
	;; [unrolled: 1-line block ×7, first 2 shown]
	v_fma_f64 v[42:43], v[42:43], v[147:148], v[94:95]
	v_fma_f64 v[44:45], v[44:45], v[147:148], -v[96:97]
	v_fma_f64 v[46:47], v[46:47], v[159:160], v[98:99]
	v_fma_f64 v[48:49], v[48:49], v[159:160], -v[100:101]
	;; [unrolled: 2-line block ×4, first 2 shown]
	s_clause 0x1
	scratch_store_b32 off, v110, off
	scratch_store_b32 off, v4, off offset:100
	ds_store_b128 v168, v[38:41] offset:2688
	ds_store_b128 v168, v[42:45] offset:3024
	;; [unrolled: 1-line block ×5, first 2 shown]
	s_and_saveexec_b32 s3, vcc_lo
	s_cbranch_execz .LBB0_3
; %bb.2:
	s_clause 0x1
	scratch_load_b32 v13, off, off offset:100
	scratch_load_b64 v[20:21], off, off offset:4
	v_mad_u64_u32 v[46:47], null, 0xfffff110, s8, v[0:1]
	s_mul_i32 s2, s9, 0xfffff110
	s_waitcnt vmcnt(0)
	s_clause 0x1
	global_load_b128 v[4:7], v[20:21], off offset:208
	global_load_b128 v[8:11], v[20:21], off offset:544
	v_mad_u64_u32 v[50:51], null, s8, v13, 0
	s_sub_i32 s2, s2, s8
	s_delay_alu instid0(SALU_CYCLE_1) | instskip(SKIP_1) | instid1(VALU_DEP_3)
	v_add_nc_u32_e32 v47, s2, v47
	v_add_co_u32 v0, s2, v46, s12
	v_mov_b32_e32 v12, v51
	s_delay_alu instid0(VALU_DEP_3) | instskip(NEXT) | instid1(VALU_DEP_3)
	v_add_co_ci_u32_e64 v1, s2, s13, v47, s2
	v_add_co_u32 v54, s2, v0, s12
	s_delay_alu instid0(VALU_DEP_3) | instskip(NEXT) | instid1(VALU_DEP_3)
	v_mad_u64_u32 v[38:39], null, s9, v13, v[12:13]
	v_add_co_ci_u32_e64 v55, s2, s13, v1, s2
	s_delay_alu instid0(VALU_DEP_3)
	v_add_co_u32 v58, s2, v54, s12
	s_clause 0x5
	global_load_b128 v[12:15], v[20:21], off offset:880
	global_load_b128 v[16:19], v[20:21], off offset:1216
	;; [unrolled: 1-line block ×6, first 2 shown]
	v_add_co_ci_u32_e64 v59, s2, s13, v55, s2
	v_add_co_u32 v62, s2, v58, s12
	s_delay_alu instid0(VALU_DEP_1) | instskip(NEXT) | instid1(VALU_DEP_2)
	v_add_co_ci_u32_e64 v63, s2, s13, v59, s2
	v_add_co_u32 v66, s2, v62, s12
	s_delay_alu instid0(VALU_DEP_1) | instskip(NEXT) | instid1(VALU_DEP_2)
	v_add_co_ci_u32_e64 v67, s2, s13, v63, s2
	v_add_co_u32 v70, s2, v66, s12
	s_delay_alu instid0(VALU_DEP_1) | instskip(NEXT) | instid1(VALU_DEP_1)
	v_add_co_ci_u32_e64 v71, s2, s13, v67, s2
	v_mad_u64_u32 v[74:75], null, 0x2a0, s8, v[70:71]
	v_mov_b32_e32 v51, v38
	s_clause 0x1
	global_load_b128 v[38:41], v[20:21], off offset:2896
	global_load_b128 v[42:45], v[20:21], off offset:3232
	global_load_b128 v[46:49], v[46:47], off
	v_mov_b32_e32 v52, v75
	v_lshlrev_b64 v[64:65], 4, v[50:51]
	s_delay_alu instid0(VALU_DEP_2) | instskip(NEXT) | instid1(VALU_DEP_2)
	v_mad_u64_u32 v[68:69], null, 0x2a0, s9, v[52:53]
	v_add_co_u32 v64, s2, v2, v64
	s_delay_alu instid0(VALU_DEP_1) | instskip(SKIP_1) | instid1(VALU_DEP_4)
	v_add_co_ci_u32_e64 v65, s2, v3, v65, s2
	v_add_co_u32 v78, s2, v74, s12
	v_mov_b32_e32 v75, v68
	global_load_b128 v[50:53], v[0:1], off
	global_load_b128 v[54:57], v[54:55], off
	;; [unrolled: 1-line block ×5, first 2 shown]
	v_add_co_ci_u32_e64 v79, s2, s13, v75, s2
	v_add_co_u32 v86, s2, v78, s12
	s_delay_alu instid0(VALU_DEP_1) | instskip(NEXT) | instid1(VALU_DEP_2)
	v_add_co_ci_u32_e64 v87, s2, s13, v79, s2
	v_add_co_u32 v90, s2, v86, s12
	global_load_b128 v[66:69], v[66:67], off
	global_load_b128 v[70:73], v[70:71], off
	;; [unrolled: 1-line block ×5, first 2 shown]
	v_add_co_ci_u32_e64 v91, s2, s13, v87, s2
	v_add_co_u32 v98, s2, 0x1000, v20
	s_delay_alu instid0(VALU_DEP_1) | instskip(SKIP_1) | instid1(VALU_DEP_1)
	v_add_co_ci_u32_e64 v99, s2, 0, v21, s2
	v_add_co_u32 v102, s2, v90, s12
	v_add_co_ci_u32_e64 v103, s2, s13, v91, s2
	global_load_b128 v[86:89], v[20:21], off offset:3568
	global_load_b128 v[90:93], v[90:91], off
	s_clause 0x1
	global_load_b128 v[94:97], v[20:21], off offset:3904
	global_load_b128 v[98:101], v[98:99], off offset:144
	global_load_b128 v[102:105], v[102:103], off
	s_waitcnt vmcnt(15)
	v_mul_f64 v[106:107], v[48:49], v[6:7]
	v_mul_f64 v[6:7], v[46:47], v[6:7]
	s_waitcnt vmcnt(14)
	v_mul_f64 v[108:109], v[52:53], v[10:11]
	v_mul_f64 v[10:11], v[50:51], v[10:11]
	;; [unrolled: 3-line block ×10, first 2 shown]
	v_fma_f64 v[44:45], v[46:47], v[4:5], v[106:107]
	s_waitcnt vmcnt(4)
	v_mul_f64 v[128:129], v[84:85], v[88:89]
	v_mul_f64 v[88:89], v[82:83], v[88:89]
	s_waitcnt vmcnt(2)
	v_mul_f64 v[130:131], v[92:93], v[96:97]
	v_mul_f64 v[96:97], v[90:91], v[96:97]
	;; [unrolled: 3-line block ×3, first 2 shown]
	v_fma_f64 v[46:47], v[48:49], v[4:5], -v[6:7]
	v_fma_f64 v[4:5], v[50:51], v[8:9], v[108:109]
	v_fma_f64 v[6:7], v[52:53], v[8:9], -v[10:11]
	v_fma_f64 v[8:9], v[54:55], v[12:13], v[110:111]
	;; [unrolled: 2-line block ×12, first 2 shown]
	v_fma_f64 v[54:55], v[104:105], v[98:99], -v[100:101]
	ds_store_b128 v168, v[44:47] offset:208
	ds_store_b128 v168, v[4:7] offset:544
	ds_store_b128 v168, v[8:11] offset:880
	ds_store_b128 v168, v[12:15] offset:1216
	ds_store_b128 v168, v[0:3] offset:1552
	ds_store_b128 v168, v[22:25] offset:1888
	ds_store_b128 v168, v[26:29] offset:2224
	ds_store_b128 v168, v[16:19] offset:2560
	ds_store_b128 v168, v[30:33] offset:2896
	ds_store_b128 v168, v[34:37] offset:3232
	ds_store_b128 v168, v[38:41] offset:3568
	ds_store_b128 v168, v[48:51] offset:3904
	ds_store_b128 v168, v[52:55] offset:4240
.LBB0_3:
	s_or_b32 exec_lo, exec_lo, s3
	scratch_store_b32 off, v134, off offset:312 ; 4-byte Folded Spill
	s_waitcnt lgkmcnt(0)
	s_waitcnt_vscnt null, 0x0
	s_barrier
	buffer_gl0_inv
	ds_load_b128 v[52:55], v168
	ds_load_b128 v[60:63], v168 offset:336
	ds_load_b128 v[0:3], v168 offset:672
	;; [unrolled: 1-line block ×12, first 2 shown]
	s_load_b64 s[0:1], s[0:1], 0x8
                                        ; implicit-def: $vgpr72_vgpr73
                                        ; implicit-def: $vgpr96_vgpr97
                                        ; implicit-def: $vgpr104_vgpr105
                                        ; implicit-def: $vgpr108_vgpr109
                                        ; implicit-def: $vgpr120_vgpr121
                                        ; implicit-def: $vgpr116_vgpr117
                                        ; implicit-def: $vgpr112_vgpr113
                                        ; implicit-def: $vgpr100_vgpr101
                                        ; implicit-def: $vgpr92_vgpr93
                                        ; implicit-def: $vgpr88_vgpr89
                                        ; implicit-def: $vgpr84_vgpr85
                                        ; implicit-def: $vgpr80_vgpr81
                                        ; implicit-def: $vgpr76_vgpr77
	s_and_saveexec_b32 s2, vcc_lo
	s_cbranch_execz .LBB0_5
; %bb.4:
	ds_load_b128 v[72:75], v168 offset:208
	ds_load_b128 v[96:99], v168 offset:544
	;; [unrolled: 1-line block ×13, first 2 shown]
.LBB0_5:
	s_or_b32 exec_lo, exec_lo, s2
	s_waitcnt lgkmcnt(0)
	v_add_f64 v[22:23], v[52:53], v[60:61]
	v_add_f64 v[24:25], v[54:55], v[62:63]
	;; [unrolled: 1-line block ×3, first 2 shown]
	v_add_f64 v[142:143], v[124:125], -v[68:69]
	v_add_f64 v[146:147], v[16:17], -v[12:13]
	v_add_f64 v[138:139], v[126:127], v[70:71]
	v_add_f64 v[144:145], v[126:127], -v[70:71]
	v_add_f64 v[148:149], v[18:19], -v[14:15]
	v_add_f64 v[150:151], v[8:9], v[4:5]
	v_add_f64 v[154:155], v[8:9], -v[4:5]
	v_add_f64 v[152:153], v[10:11], v[6:7]
	;; [unrolled: 2-line block ×3, first 2 shown]
	v_add_f64 v[162:163], v[0:1], -v[64:65]
	s_mov_b32 s28, 0x4267c47c
	s_mov_b32 s26, 0x42a4c3d2
	;; [unrolled: 1-line block ×12, first 2 shown]
	v_add_f64 v[160:161], v[2:3], v[66:67]
	v_add_f64 v[164:165], v[2:3], -v[66:67]
	s_mov_b32 s18, 0xe00740e9
	s_mov_b32 s16, 0x1ea71119
	;; [unrolled: 1-line block ×10, first 2 shown]
	v_add_f64 v[22:23], v[22:23], v[0:1]
	v_add_f64 v[24:25], v[24:25], v[2:3]
	s_mov_b32 s9, 0xbfe7f3cc
	s_mov_b32 s3, 0xbfef11f4
	v_add_f64 v[136:137], v[134:135], v[130:131]
	s_mov_b32 s39, 0x3fe5384d
	s_mov_b32 s38, s22
	s_mov_b32 s35, 0x3fefc445
	s_mov_b32 s34, s24
	s_mov_b32 s37, 0x3fddbe06
	s_mov_b32 s36, s28
	s_mov_b32 s41, 0x3fedeba7
	s_mov_b32 s40, s20
	s_mov_b32 s45, 0x3fcea1e5
	s_mov_b32 s44, s30
	s_mov_b32 s43, 0x3fea55e2
	s_mov_b32 s42, s26
	v_add_f64 v[188:189], v[98:99], -v[78:79]
	v_add_f64 v[184:185], v[96:97], v[76:77]
	v_add_f64 v[174:175], v[106:107], -v[82:83]
	v_add_f64 v[238:239], v[96:97], -v[76:77]
	v_add_f64 v[196:197], v[98:99], v[78:79]
	v_add_f64 v[170:171], v[104:105], -v[80:81]
	v_add_f64 v[178:179], v[110:111], -v[86:87]
	;; [unrolled: 1-line block ×9, first 2 shown]
	scratch_store_b32 off, v169, off offset:496 ; 4-byte Folded Spill
	v_add_f64 v[22:23], v[22:23], v[8:9]
	v_add_f64 v[24:25], v[24:25], v[10:11]
	v_add_f64 v[10:11], v[60:61], -v[56:57]
	v_add_f64 v[8:9], v[62:63], v[58:59]
	v_mul_f64 v[20:21], v[188:189], s[28:29]
	v_mul_f64 v[234:235], v[174:175], s[38:39]
	;; [unrolled: 1-line block ×17, first 2 shown]
	v_add_f64 v[22:23], v[22:23], v[16:17]
	v_add_f64 v[24:25], v[24:25], v[18:19]
	v_mul_f64 v[38:39], v[10:11], s[26:27]
	v_mul_f64 v[40:41], v[10:11], s[24:25]
	;; [unrolled: 1-line block ×4, first 2 shown]
	scratch_store_b64 off, v[20:21], off offset:472 ; 8-byte Folded Spill
	v_add_f64 v[22:23], v[22:23], v[124:125]
	v_add_f64 v[24:25], v[24:25], v[126:127]
	v_fma_f64 v[48:49], v[8:9], s[16:17], v[38:39]
	v_fma_f64 v[50:51], v[8:9], s[14:15], v[40:41]
	v_fma_f64 v[38:39], v[8:9], s[16:17], -v[38:39]
	v_fma_f64 v[40:41], v[8:9], s[14:15], -v[40:41]
	v_add_f64 v[26:27], v[22:23], v[132:133]
	v_add_f64 v[24:25], v[24:25], v[134:135]
	;; [unrolled: 1-line block ×3, first 2 shown]
	v_add_f64 v[132:133], v[132:133], -v[128:129]
	v_add_f64 v[38:39], v[54:55], v[38:39]
	v_add_f64 v[40:41], v[54:55], v[40:41]
	v_add_f64 v[134:135], v[134:135], -v[130:131]
	v_add_f64 v[26:27], v[26:27], v[128:129]
	v_add_f64 v[24:25], v[24:25], v[130:131]
	s_delay_alu instid0(VALU_DEP_2) | instskip(NEXT) | instid1(VALU_DEP_2)
	v_add_f64 v[26:27], v[26:27], v[68:69]
	v_add_f64 v[24:25], v[24:25], v[70:71]
	;; [unrolled: 1-line block ×4, first 2 shown]
	s_delay_alu instid0(VALU_DEP_4) | instskip(NEXT) | instid1(VALU_DEP_4)
	v_add_f64 v[12:13], v[26:27], v[12:13]
	v_add_f64 v[14:15], v[24:25], v[14:15]
	s_delay_alu instid0(VALU_DEP_2) | instskip(NEXT) | instid1(VALU_DEP_2)
	v_add_f64 v[4:5], v[12:13], v[4:5]
	v_add_f64 v[6:7], v[14:15], v[6:7]
	s_delay_alu instid0(VALU_DEP_2) | instskip(SKIP_1) | instid1(VALU_DEP_3)
	v_add_f64 v[0:1], v[4:5], v[64:65]
	v_add_f64 v[4:5], v[62:63], -v[58:59]
	v_add_f64 v[2:3], v[6:7], v[66:67]
	v_add_f64 v[6:7], v[60:61], v[56:57]
	s_delay_alu instid0(VALU_DEP_4) | instskip(NEXT) | instid1(VALU_DEP_4)
	v_add_f64 v[0:1], v[0:1], v[56:57]
	v_mul_f64 v[12:13], v[4:5], s[28:29]
	v_mul_f64 v[14:15], v[4:5], s[26:27]
	;; [unrolled: 1-line block ×6, first 2 shown]
	v_add_f64 v[2:3], v[2:3], v[58:59]
	v_fma_f64 v[56:57], v[8:9], s[12:13], v[42:43]
	v_fma_f64 v[42:43], v[8:9], s[12:13], -v[42:43]
	v_fma_f64 v[58:59], v[8:9], s[8:9], v[44:45]
	v_fma_f64 v[44:45], v[8:9], s[8:9], -v[44:45]
	v_fma_f64 v[26:27], v[6:7], s[18:19], -v[12:13]
	v_fma_f64 v[12:13], v[6:7], s[18:19], v[12:13]
	v_fma_f64 v[28:29], v[6:7], s[16:17], -v[14:15]
	v_fma_f64 v[14:15], v[6:7], s[16:17], v[14:15]
	;; [unrolled: 2-line block ×6, first 2 shown]
	v_mul_f64 v[6:7], v[10:11], s[28:29]
	v_mul_f64 v[10:11], v[10:11], s[30:31]
	v_add_f64 v[56:57], v[54:55], v[56:57]
	v_add_f64 v[42:43], v[54:55], v[42:43]
	;; [unrolled: 1-line block ×13, first 2 shown]
	v_mul_f64 v[18:19], v[156:157], s[24:25]
	v_fma_f64 v[46:47], v[8:9], s[18:19], v[6:7]
	v_fma_f64 v[6:7], v[8:9], s[18:19], -v[6:7]
	v_fma_f64 v[60:61], v[8:9], s[2:3], v[10:11]
	v_fma_f64 v[8:9], v[8:9], s[2:3], -v[10:11]
	v_add_f64 v[10:11], v[52:53], v[26:27]
	v_add_f64 v[26:27], v[54:55], v[46:47]
	;; [unrolled: 1-line block ×6, first 2 shown]
	v_mul_f64 v[4:5], v[164:165], s[26:27]
	v_add_f64 v[6:7], v[54:55], v[6:7]
	v_add_f64 v[60:61], v[54:55], v[60:61]
	;; [unrolled: 1-line block ×3, first 2 shown]
	v_mul_f64 v[16:17], v[162:163], s[26:27]
	v_fma_f64 v[8:9], v[158:159], s[16:17], -v[4:5]
	v_fma_f64 v[4:5], v[158:159], s[16:17], v[4:5]
	s_delay_alu instid0(VALU_DEP_2) | instskip(NEXT) | instid1(VALU_DEP_4)
	v_add_f64 v[8:9], v[8:9], v[10:11]
	v_fma_f64 v[10:11], v[160:161], s[16:17], v[16:17]
	s_delay_alu instid0(VALU_DEP_3) | instskip(SKIP_1) | instid1(VALU_DEP_3)
	v_add_f64 v[4:5], v[4:5], v[12:13]
	v_fma_f64 v[12:13], v[160:161], s[16:17], -v[16:17]
	v_add_f64 v[10:11], v[10:11], v[26:27]
	v_fma_f64 v[26:27], v[150:151], s[14:15], -v[18:19]
	s_delay_alu instid0(VALU_DEP_3) | instskip(SKIP_1) | instid1(VALU_DEP_3)
	v_add_f64 v[6:7], v[12:13], v[6:7]
	v_fma_f64 v[12:13], v[150:151], s[14:15], v[18:19]
	v_add_f64 v[8:9], v[26:27], v[8:9]
	v_mul_f64 v[26:27], v[154:155], s[24:25]
	s_delay_alu instid0(VALU_DEP_3) | instskip(NEXT) | instid1(VALU_DEP_2)
	v_add_f64 v[4:5], v[12:13], v[4:5]
	v_fma_f64 v[64:65], v[152:153], s[14:15], v[26:27]
	v_fma_f64 v[12:13], v[152:153], s[14:15], -v[26:27]
	v_mul_f64 v[26:27], v[162:163], s[20:21]
	s_delay_alu instid0(VALU_DEP_3) | instskip(SKIP_1) | instid1(VALU_DEP_4)
	v_add_f64 v[10:11], v[64:65], v[10:11]
	v_mul_f64 v[64:65], v[148:149], s[20:21]
	v_add_f64 v[6:7], v[12:13], v[6:7]
	s_delay_alu instid0(VALU_DEP_4) | instskip(NEXT) | instid1(VALU_DEP_3)
	v_fma_f64 v[18:19], v[160:161], s[12:13], v[26:27]
	v_fma_f64 v[66:67], v[68:69], s[12:13], -v[64:65]
	v_fma_f64 v[12:13], v[68:69], s[12:13], v[64:65]
	s_delay_alu instid0(VALU_DEP_3) | instskip(NEXT) | instid1(VALU_DEP_3)
	v_add_f64 v[18:19], v[18:19], v[46:47]
	v_add_f64 v[8:9], v[66:67], v[8:9]
	v_mul_f64 v[66:67], v[146:147], s[20:21]
	s_delay_alu instid0(VALU_DEP_4) | instskip(NEXT) | instid1(VALU_DEP_2)
	v_add_f64 v[4:5], v[12:13], v[4:5]
	v_fma_f64 v[124:125], v[70:71], s[12:13], v[66:67]
	v_fma_f64 v[12:13], v[70:71], s[12:13], -v[66:67]
	s_delay_alu instid0(VALU_DEP_2) | instskip(SKIP_1) | instid1(VALU_DEP_3)
	v_add_f64 v[10:11], v[124:125], v[10:11]
	v_mul_f64 v[124:125], v[144:145], s[22:23]
	v_add_f64 v[6:7], v[12:13], v[6:7]
	s_delay_alu instid0(VALU_DEP_2) | instskip(SKIP_1) | instid1(VALU_DEP_2)
	v_fma_f64 v[126:127], v[140:141], s[8:9], -v[124:125]
	v_fma_f64 v[12:13], v[140:141], s[8:9], v[124:125]
	v_add_f64 v[8:9], v[126:127], v[8:9]
	v_mul_f64 v[126:127], v[142:143], s[22:23]
	s_delay_alu instid0(VALU_DEP_3) | instskip(NEXT) | instid1(VALU_DEP_2)
	v_add_f64 v[4:5], v[12:13], v[4:5]
	v_fma_f64 v[128:129], v[138:139], s[8:9], v[126:127]
	v_fma_f64 v[12:13], v[138:139], s[8:9], -v[126:127]
	s_delay_alu instid0(VALU_DEP_2) | instskip(SKIP_1) | instid1(VALU_DEP_3)
	v_add_f64 v[10:11], v[128:129], v[10:11]
	v_mul_f64 v[128:129], v[134:135], s[30:31]
	v_add_f64 v[6:7], v[12:13], v[6:7]
	s_delay_alu instid0(VALU_DEP_2) | instskip(SKIP_1) | instid1(VALU_DEP_2)
	v_fma_f64 v[130:131], v[22:23], s[2:3], -v[128:129]
	v_fma_f64 v[12:13], v[22:23], s[2:3], v[128:129]
	v_add_f64 v[8:9], v[130:131], v[8:9]
	v_mul_f64 v[130:131], v[132:133], s[30:31]
	s_delay_alu instid0(VALU_DEP_3) | instskip(SKIP_1) | instid1(VALU_DEP_3)
	v_add_f64 v[4:5], v[12:13], v[4:5]
	v_mul_f64 v[12:13], v[164:165], s[20:21]
	v_fma_f64 v[16:17], v[136:137], s[2:3], -v[130:131]
	v_fma_f64 v[166:167], v[136:137], s[2:3], v[130:131]
	s_delay_alu instid0(VALU_DEP_2) | instskip(NEXT) | instid1(VALU_DEP_4)
	v_add_f64 v[6:7], v[16:17], v[6:7]
	v_fma_f64 v[16:17], v[158:159], s[12:13], -v[12:13]
	v_fma_f64 v[12:13], v[158:159], s[12:13], v[12:13]
	s_delay_alu instid0(VALU_DEP_4) | instskip(NEXT) | instid1(VALU_DEP_3)
	v_add_f64 v[10:11], v[166:167], v[10:11]
	v_add_f64 v[16:17], v[16:17], v[28:29]
	v_mul_f64 v[28:29], v[156:157], s[30:31]
	s_delay_alu instid0(VALU_DEP_4) | instskip(SKIP_1) | instid1(VALU_DEP_3)
	v_add_f64 v[12:13], v[12:13], v[14:15]
	v_fma_f64 v[14:15], v[160:161], s[12:13], -v[26:27]
	v_fma_f64 v[46:47], v[150:151], s[2:3], -v[28:29]
	v_fma_f64 v[26:27], v[150:151], s[2:3], v[28:29]
	s_delay_alu instid0(VALU_DEP_3) | instskip(NEXT) | instid1(VALU_DEP_3)
	v_add_f64 v[14:15], v[14:15], v[38:39]
	v_add_f64 v[16:17], v[46:47], v[16:17]
	v_mul_f64 v[46:47], v[154:155], s[30:31]
	s_delay_alu instid0(VALU_DEP_4) | instskip(NEXT) | instid1(VALU_DEP_2)
	v_add_f64 v[12:13], v[26:27], v[12:13]
	v_fma_f64 v[64:65], v[152:153], s[2:3], v[46:47]
	v_fma_f64 v[26:27], v[152:153], s[2:3], -v[46:47]
	v_mul_f64 v[46:47], v[156:157], s[40:41]
	s_delay_alu instid0(VALU_DEP_3) | instskip(SKIP_1) | instid1(VALU_DEP_4)
	v_add_f64 v[18:19], v[64:65], v[18:19]
	v_mul_f64 v[64:65], v[148:149], s[38:39]
	v_add_f64 v[14:15], v[26:27], v[14:15]
	s_delay_alu instid0(VALU_DEP_2) | instskip(SKIP_1) | instid1(VALU_DEP_2)
	v_fma_f64 v[66:67], v[68:69], s[8:9], -v[64:65]
	v_fma_f64 v[26:27], v[68:69], s[8:9], v[64:65]
	v_add_f64 v[16:17], v[66:67], v[16:17]
	v_mul_f64 v[66:67], v[146:147], s[38:39]
	s_delay_alu instid0(VALU_DEP_3) | instskip(NEXT) | instid1(VALU_DEP_2)
	v_add_f64 v[12:13], v[26:27], v[12:13]
	v_fma_f64 v[124:125], v[70:71], s[8:9], v[66:67]
	v_fma_f64 v[26:27], v[70:71], s[8:9], -v[66:67]
	s_delay_alu instid0(VALU_DEP_2) | instskip(SKIP_1) | instid1(VALU_DEP_3)
	v_add_f64 v[18:19], v[124:125], v[18:19]
	v_mul_f64 v[124:125], v[144:145], s[34:35]
	v_add_f64 v[14:15], v[26:27], v[14:15]
	s_delay_alu instid0(VALU_DEP_2) | instskip(SKIP_1) | instid1(VALU_DEP_2)
	v_fma_f64 v[126:127], v[140:141], s[14:15], -v[124:125]
	v_fma_f64 v[26:27], v[140:141], s[14:15], v[124:125]
	v_add_f64 v[16:17], v[126:127], v[16:17]
	v_mul_f64 v[126:127], v[142:143], s[34:35]
	s_delay_alu instid0(VALU_DEP_3) | instskip(NEXT) | instid1(VALU_DEP_2)
	v_add_f64 v[12:13], v[26:27], v[12:13]
	v_fma_f64 v[128:129], v[138:139], s[14:15], v[126:127]
	v_fma_f64 v[26:27], v[138:139], s[14:15], -v[126:127]
	s_delay_alu instid0(VALU_DEP_2) | instskip(SKIP_1) | instid1(VALU_DEP_3)
	v_add_f64 v[18:19], v[128:129], v[18:19]
	v_mul_f64 v[128:129], v[134:135], s[36:37]
	v_add_f64 v[14:15], v[26:27], v[14:15]
	s_delay_alu instid0(VALU_DEP_2) | instskip(SKIP_1) | instid1(VALU_DEP_2)
	v_fma_f64 v[130:131], v[22:23], s[18:19], -v[128:129]
	v_fma_f64 v[26:27], v[22:23], s[18:19], v[128:129]
	v_add_f64 v[16:17], v[130:131], v[16:17]
	v_mul_f64 v[130:131], v[132:133], s[36:37]
	s_delay_alu instid0(VALU_DEP_3) | instskip(SKIP_1) | instid1(VALU_DEP_3)
	v_add_f64 v[12:13], v[26:27], v[12:13]
	v_mul_f64 v[26:27], v[164:165], s[30:31]
	v_fma_f64 v[28:29], v[136:137], s[18:19], -v[130:131]
	v_fma_f64 v[166:167], v[136:137], s[18:19], v[130:131]
	s_delay_alu instid0(VALU_DEP_2) | instskip(NEXT) | instid1(VALU_DEP_4)
	v_add_f64 v[14:15], v[28:29], v[14:15]
	v_fma_f64 v[28:29], v[158:159], s[2:3], -v[26:27]
	s_delay_alu instid0(VALU_DEP_3) | instskip(SKIP_2) | instid1(VALU_DEP_4)
	v_add_f64 v[18:19], v[166:167], v[18:19]
	v_mul_f64 v[166:167], v[134:135], s[22:23]
	v_fma_f64 v[26:27], v[158:159], s[2:3], v[26:27]
	v_add_f64 v[28:29], v[28:29], v[30:31]
	v_mul_f64 v[30:31], v[162:163], s[30:31]
	s_delay_alu instid0(VALU_DEP_3) | instskip(NEXT) | instid1(VALU_DEP_2)
	v_add_f64 v[26:27], v[26:27], v[50:51]
	v_fma_f64 v[38:39], v[160:161], s[2:3], v[30:31]
	v_fma_f64 v[30:31], v[160:161], s[2:3], -v[30:31]
	s_delay_alu instid0(VALU_DEP_2) | instskip(SKIP_1) | instid1(VALU_DEP_3)
	v_add_f64 v[38:39], v[38:39], v[48:49]
	v_fma_f64 v[48:49], v[150:151], s[12:13], -v[46:47]
	v_add_f64 v[30:31], v[30:31], v[40:41]
	s_delay_alu instid0(VALU_DEP_2) | instskip(SKIP_1) | instid1(VALU_DEP_1)
	v_add_f64 v[28:29], v[48:49], v[28:29]
	v_mul_f64 v[48:49], v[154:155], s[40:41]
	v_fma_f64 v[64:65], v[152:153], s[12:13], v[48:49]
	s_delay_alu instid0(VALU_DEP_1) | instskip(SKIP_1) | instid1(VALU_DEP_1)
	v_add_f64 v[38:39], v[64:65], v[38:39]
	v_mul_f64 v[64:65], v[148:149], s[36:37]
	v_fma_f64 v[66:67], v[68:69], s[18:19], -v[64:65]
	s_delay_alu instid0(VALU_DEP_1) | instskip(SKIP_1) | instid1(VALU_DEP_1)
	v_add_f64 v[28:29], v[66:67], v[28:29]
	v_mul_f64 v[66:67], v[146:147], s[36:37]
	v_fma_f64 v[124:125], v[70:71], s[18:19], v[66:67]
	s_delay_alu instid0(VALU_DEP_1) | instskip(SKIP_1) | instid1(VALU_DEP_1)
	v_add_f64 v[38:39], v[124:125], v[38:39]
	v_mul_f64 v[124:125], v[144:145], s[26:27]
	v_fma_f64 v[126:127], v[140:141], s[16:17], -v[124:125]
	s_delay_alu instid0(VALU_DEP_1) | instskip(SKIP_1) | instid1(VALU_DEP_1)
	v_add_f64 v[28:29], v[126:127], v[28:29]
	v_mul_f64 v[126:127], v[142:143], s[26:27]
	v_fma_f64 v[128:129], v[138:139], s[16:17], v[126:127]
	s_delay_alu instid0(VALU_DEP_1) | instskip(SKIP_1) | instid1(VALU_DEP_1)
	v_add_f64 v[38:39], v[128:129], v[38:39]
	v_fma_f64 v[128:129], v[22:23], s[8:9], -v[166:167]
	v_add_f64 v[128:129], v[128:129], v[28:29]
	v_mul_f64 v[28:29], v[132:133], s[22:23]
	s_delay_alu instid0(VALU_DEP_1) | instskip(SKIP_1) | instid1(VALU_DEP_2)
	v_fma_f64 v[130:131], v[136:137], s[8:9], v[28:29]
	v_fma_f64 v[28:29], v[136:137], s[8:9], -v[28:29]
	v_add_f64 v[130:131], v[130:131], v[38:39]
	v_fma_f64 v[38:39], v[150:151], s[12:13], v[46:47]
	s_delay_alu instid0(VALU_DEP_1) | instskip(SKIP_1) | instid1(VALU_DEP_1)
	v_add_f64 v[26:27], v[38:39], v[26:27]
	v_fma_f64 v[38:39], v[152:153], s[12:13], -v[48:49]
	v_add_f64 v[30:31], v[38:39], v[30:31]
	v_fma_f64 v[38:39], v[68:69], s[18:19], v[64:65]
	s_delay_alu instid0(VALU_DEP_1) | instskip(SKIP_1) | instid1(VALU_DEP_1)
	v_add_f64 v[26:27], v[38:39], v[26:27]
	;; [unrolled: 5-line block ×3, first 2 shown]
	v_fma_f64 v[38:39], v[138:139], s[16:17], -v[126:127]
	v_add_f64 v[30:31], v[38:39], v[30:31]
	v_fma_f64 v[38:39], v[22:23], s[8:9], v[166:167]
	v_add_f64 v[166:167], v[114:115], v[102:103]
	s_delay_alu instid0(VALU_DEP_3) | instskip(NEXT) | instid1(VALU_DEP_3)
	v_add_f64 v[126:127], v[28:29], v[30:31]
	v_add_f64 v[124:125], v[38:39], v[26:27]
	v_mul_f64 v[26:27], v[164:165], s[38:39]
	v_mul_f64 v[38:39], v[156:157], s[36:37]
	;; [unrolled: 1-line block ×3, first 2 shown]
	s_delay_alu instid0(VALU_DEP_3) | instskip(NEXT) | instid1(VALU_DEP_3)
	v_fma_f64 v[28:29], v[158:159], s[8:9], -v[26:27]
	v_fma_f64 v[40:41], v[150:151], s[18:19], -v[38:39]
	v_fma_f64 v[26:27], v[158:159], s[8:9], v[26:27]
	s_delay_alu instid0(VALU_DEP_3) | instskip(SKIP_1) | instid1(VALU_DEP_3)
	v_add_f64 v[28:29], v[28:29], v[32:33]
	v_fma_f64 v[32:33], v[160:161], s[8:9], v[30:31]
	v_add_f64 v[26:27], v[26:27], v[62:63]
	v_fma_f64 v[30:31], v[160:161], s[8:9], -v[30:31]
	v_mul_f64 v[62:63], v[188:189], s[22:23]
	v_add_f64 v[28:29], v[40:41], v[28:29]
	v_mul_f64 v[40:41], v[154:155], s[36:37]
	v_add_f64 v[32:33], v[32:33], v[56:57]
	v_add_f64 v[30:31], v[30:31], v[42:43]
	s_delay_alu instid0(VALU_DEP_3) | instskip(NEXT) | instid1(VALU_DEP_1)
	v_fma_f64 v[46:47], v[152:153], s[18:19], v[40:41]
	v_add_f64 v[32:33], v[46:47], v[32:33]
	v_mul_f64 v[46:47], v[148:149], s[24:25]
	s_delay_alu instid0(VALU_DEP_1) | instskip(NEXT) | instid1(VALU_DEP_1)
	v_fma_f64 v[48:49], v[68:69], s[14:15], -v[46:47]
	v_add_f64 v[28:29], v[48:49], v[28:29]
	v_mul_f64 v[48:49], v[146:147], s[24:25]
	s_delay_alu instid0(VALU_DEP_1) | instskip(NEXT) | instid1(VALU_DEP_1)
	v_fma_f64 v[50:51], v[70:71], s[14:15], v[48:49]
	v_add_f64 v[32:33], v[50:51], v[32:33]
	v_mul_f64 v[50:51], v[144:145], s[44:45]
	s_delay_alu instid0(VALU_DEP_1) | instskip(NEXT) | instid1(VALU_DEP_1)
	v_fma_f64 v[56:57], v[140:141], s[2:3], -v[50:51]
	v_add_f64 v[28:29], v[56:57], v[28:29]
	v_mul_f64 v[56:57], v[142:143], s[44:45]
	s_delay_alu instid0(VALU_DEP_1) | instskip(NEXT) | instid1(VALU_DEP_1)
	v_fma_f64 v[64:65], v[138:139], s[2:3], v[56:57]
	v_add_f64 v[32:33], v[64:65], v[32:33]
	v_mul_f64 v[64:65], v[134:135], s[42:43]
	s_delay_alu instid0(VALU_DEP_1) | instskip(NEXT) | instid1(VALU_DEP_1)
	v_fma_f64 v[66:67], v[22:23], s[16:17], -v[64:65]
	v_add_f64 v[198:199], v[66:67], v[28:29]
	v_mul_f64 v[28:29], v[132:133], s[42:43]
	s_delay_alu instid0(VALU_DEP_1) | instskip(SKIP_1) | instid1(VALU_DEP_2)
	v_fma_f64 v[66:67], v[136:137], s[16:17], v[28:29]
	v_fma_f64 v[28:29], v[136:137], s[16:17], -v[28:29]
	v_add_f64 v[200:201], v[66:67], v[32:33]
	v_fma_f64 v[32:33], v[150:151], s[18:19], v[38:39]
	s_delay_alu instid0(VALU_DEP_1) | instskip(SKIP_1) | instid1(VALU_DEP_1)
	v_add_f64 v[26:27], v[32:33], v[26:27]
	v_fma_f64 v[32:33], v[152:153], s[18:19], -v[40:41]
	v_add_f64 v[30:31], v[32:33], v[30:31]
	v_fma_f64 v[32:33], v[68:69], s[14:15], v[46:47]
	s_delay_alu instid0(VALU_DEP_1) | instskip(SKIP_1) | instid1(VALU_DEP_1)
	v_add_f64 v[26:27], v[32:33], v[26:27]
	;; [unrolled: 5-line block ×3, first 2 shown]
	v_fma_f64 v[32:33], v[138:139], s[2:3], -v[56:57]
	v_add_f64 v[30:31], v[32:33], v[30:31]
	v_fma_f64 v[32:33], v[22:23], s[16:17], v[64:65]
	v_mul_f64 v[64:65], v[238:239], s[22:23]
	s_delay_alu instid0(VALU_DEP_3) | instskip(NEXT) | instid1(VALU_DEP_3)
	v_add_f64 v[204:205], v[28:29], v[30:31]
	v_add_f64 v[202:203], v[32:33], v[26:27]
	v_mul_f64 v[26:27], v[164:165], s[34:35]
	v_mul_f64 v[30:31], v[162:163], s[34:35]
	s_delay_alu instid0(VALU_DEP_2) | instskip(NEXT) | instid1(VALU_DEP_2)
	v_fma_f64 v[28:29], v[158:159], s[14:15], -v[26:27]
	v_fma_f64 v[32:33], v[160:161], s[14:15], v[30:31]
	v_fma_f64 v[26:27], v[158:159], s[14:15], v[26:27]
	s_delay_alu instid0(VALU_DEP_3) | instskip(SKIP_1) | instid1(VALU_DEP_4)
	v_add_f64 v[28:29], v[28:29], v[34:35]
	v_mul_f64 v[34:35], v[156:157], s[26:27]
	v_add_f64 v[32:33], v[32:33], v[58:59]
	s_delay_alu instid0(VALU_DEP_4) | instskip(SKIP_4) | instid1(VALU_DEP_4)
	v_add_f64 v[24:25], v[26:27], v[24:25]
	v_fma_f64 v[26:27], v[160:161], s[14:15], -v[30:31]
	v_mul_f64 v[58:59], v[188:189], s[20:21]
	v_fma_f64 v[38:39], v[150:151], s[16:17], -v[34:35]
	v_fma_f64 v[30:31], v[150:151], s[16:17], v[34:35]
	v_add_f64 v[26:27], v[26:27], v[44:45]
	s_delay_alu instid0(VALU_DEP_3) | instskip(SKIP_1) | instid1(VALU_DEP_4)
	v_add_f64 v[28:29], v[38:39], v[28:29]
	v_mul_f64 v[38:39], v[154:155], s[26:27]
	v_add_f64 v[24:25], v[30:31], v[24:25]
	s_delay_alu instid0(VALU_DEP_2) | instskip(SKIP_1) | instid1(VALU_DEP_2)
	v_fma_f64 v[40:41], v[152:153], s[16:17], v[38:39]
	v_fma_f64 v[30:31], v[152:153], s[16:17], -v[38:39]
	v_add_f64 v[32:33], v[40:41], v[32:33]
	v_mul_f64 v[40:41], v[148:149], s[44:45]
	s_delay_alu instid0(VALU_DEP_3) | instskip(NEXT) | instid1(VALU_DEP_2)
	v_add_f64 v[26:27], v[30:31], v[26:27]
	v_fma_f64 v[42:43], v[68:69], s[2:3], -v[40:41]
	v_fma_f64 v[30:31], v[68:69], s[2:3], v[40:41]
	s_delay_alu instid0(VALU_DEP_2) | instskip(SKIP_1) | instid1(VALU_DEP_3)
	v_add_f64 v[28:29], v[42:43], v[28:29]
	v_mul_f64 v[42:43], v[146:147], s[44:45]
	v_add_f64 v[24:25], v[30:31], v[24:25]
	s_delay_alu instid0(VALU_DEP_2) | instskip(SKIP_1) | instid1(VALU_DEP_2)
	v_fma_f64 v[46:47], v[70:71], s[2:3], v[42:43]
	v_fma_f64 v[30:31], v[70:71], s[2:3], -v[42:43]
	v_add_f64 v[32:33], v[46:47], v[32:33]
	v_mul_f64 v[46:47], v[144:145], s[36:37]
	s_delay_alu instid0(VALU_DEP_3) | instskip(NEXT) | instid1(VALU_DEP_2)
	v_add_f64 v[26:27], v[30:31], v[26:27]
	v_fma_f64 v[48:49], v[140:141], s[18:19], -v[46:47]
	v_fma_f64 v[30:31], v[140:141], s[18:19], v[46:47]
	v_mul_f64 v[46:47], v[132:133], s[34:35]
	s_delay_alu instid0(VALU_DEP_3) | instskip(SKIP_1) | instid1(VALU_DEP_4)
	v_add_f64 v[28:29], v[48:49], v[28:29]
	v_mul_f64 v[48:49], v[142:143], s[36:37]
	v_add_f64 v[24:25], v[30:31], v[24:25]
	s_delay_alu instid0(VALU_DEP_2) | instskip(SKIP_1) | instid1(VALU_DEP_2)
	v_fma_f64 v[50:51], v[138:139], s[18:19], v[48:49]
	v_fma_f64 v[30:31], v[138:139], s[18:19], -v[48:49]
	v_add_f64 v[32:33], v[50:51], v[32:33]
	v_mul_f64 v[50:51], v[134:135], s[20:21]
	s_delay_alu instid0(VALU_DEP_3) | instskip(NEXT) | instid1(VALU_DEP_2)
	v_add_f64 v[26:27], v[30:31], v[26:27]
	v_fma_f64 v[56:57], v[22:23], s[12:13], -v[50:51]
	v_fma_f64 v[30:31], v[22:23], s[12:13], v[50:51]
	v_mul_f64 v[50:51], v[188:189], s[26:27]
	s_delay_alu instid0(VALU_DEP_3) | instskip(SKIP_1) | instid1(VALU_DEP_4)
	v_add_f64 v[206:207], v[56:57], v[28:29]
	v_mul_f64 v[28:29], v[132:133], s[20:21]
	v_add_f64 v[210:211], v[30:31], v[24:25]
	v_mul_f64 v[24:25], v[164:165], s[36:37]
	v_mul_f64 v[132:133], v[194:195], s[36:37]
	s_delay_alu instid0(VALU_DEP_4) | instskip(SKIP_1) | instid1(VALU_DEP_2)
	v_fma_f64 v[56:57], v[136:137], s[12:13], v[28:29]
	v_fma_f64 v[28:29], v[136:137], s[12:13], -v[28:29]
	v_add_f64 v[208:209], v[56:57], v[32:33]
	s_delay_alu instid0(VALU_DEP_2)
	v_add_f64 v[212:213], v[28:29], v[26:27]
	v_fma_f64 v[26:27], v[158:159], s[18:19], -v[24:25]
	v_mul_f64 v[32:33], v[156:157], s[22:23]
	v_mul_f64 v[28:29], v[162:163], s[36:37]
	v_fma_f64 v[24:25], v[158:159], s[18:19], v[24:25]
	v_add_f64 v[162:163], v[118:119], v[94:95]
	v_add_f64 v[158:159], v[112:113], v[100:101]
	v_mul_f64 v[56:57], v[238:239], s[24:25]
	v_mul_f64 v[156:157], v[194:195], s[22:23]
	v_add_f64 v[26:27], v[26:27], v[36:37]
	v_fma_f64 v[34:35], v[150:151], s[8:9], -v[32:33]
	v_fma_f64 v[30:31], v[160:161], s[18:19], v[28:29]
	v_add_f64 v[24:25], v[24:25], v[52:53]
	v_mul_f64 v[52:53], v[238:239], s[26:27]
	s_delay_alu instid0(VALU_DEP_4) | instskip(SKIP_4) | instid1(VALU_DEP_4)
	v_add_f64 v[26:27], v[34:35], v[26:27]
	v_mul_f64 v[34:35], v[154:155], s[22:23]
	v_add_f64 v[30:31], v[30:31], v[60:61]
	v_add_f64 v[154:155], v[122:123], v[90:91]
	v_mul_f64 v[60:61], v[238:239], s[20:21]
	v_fma_f64 v[36:37], v[152:153], s[8:9], v[34:35]
	s_delay_alu instid0(VALU_DEP_1) | instskip(SKIP_2) | instid1(VALU_DEP_2)
	v_add_f64 v[30:31], v[36:37], v[30:31]
	v_mul_f64 v[36:37], v[148:149], s[42:43]
	v_mul_f64 v[148:149], v[170:171], s[20:21]
	v_fma_f64 v[38:39], v[68:69], s[16:17], -v[36:37]
	s_delay_alu instid0(VALU_DEP_1) | instskip(SKIP_2) | instid1(VALU_DEP_2)
	v_add_f64 v[26:27], v[38:39], v[26:27]
	v_mul_f64 v[38:39], v[146:147], s[42:43]
	v_add_f64 v[146:147], v[110:111], v[86:87]
	v_fma_f64 v[40:41], v[70:71], s[16:17], v[38:39]
	s_delay_alu instid0(VALU_DEP_1) | instskip(SKIP_2) | instid1(VALU_DEP_2)
	v_add_f64 v[30:31], v[40:41], v[30:31]
	v_mul_f64 v[40:41], v[144:145], s[20:21]
	v_mul_f64 v[144:145], v[190:191], s[34:35]
	v_fma_f64 v[42:43], v[140:141], s[12:13], -v[40:41]
	s_delay_alu instid0(VALU_DEP_1) | instskip(SKIP_2) | instid1(VALU_DEP_2)
	v_add_f64 v[26:27], v[42:43], v[26:27]
	v_mul_f64 v[42:43], v[142:143], s[20:21]
	v_add_f64 v[142:143], v[120:121], v[88:89]
	v_fma_f64 v[44:45], v[138:139], s[12:13], v[42:43]
	s_delay_alu instid0(VALU_DEP_1) | instskip(SKIP_2) | instid1(VALU_DEP_2)
	v_add_f64 v[30:31], v[44:45], v[30:31]
	v_mul_f64 v[44:45], v[134:135], s[34:35]
	v_add_f64 v[134:135], v[108:109], v[84:85]
	v_fma_f64 v[48:49], v[22:23], s[14:15], -v[44:45]
	v_fma_f64 v[22:23], v[22:23], s[14:15], v[44:45]
	s_delay_alu instid0(VALU_DEP_2) | instskip(SKIP_1) | instid1(VALU_DEP_1)
	v_add_f64 v[218:219], v[48:49], v[26:27]
	v_fma_f64 v[26:27], v[136:137], s[14:15], v[46:47]
	v_add_f64 v[220:221], v[26:27], v[30:31]
	v_fma_f64 v[26:27], v[160:161], s[18:19], -v[28:29]
	v_fma_f64 v[28:29], v[150:151], s[8:9], v[32:33]
	v_fma_f64 v[32:33], v[68:69], s[16:17], v[36:37]
	v_fma_f64 v[30:31], v[152:153], s[8:9], -v[34:35]
	v_fma_f64 v[34:35], v[70:71], s[16:17], -v[38:39]
	v_add_f64 v[150:151], v[116:117], v[92:93]
	v_mul_f64 v[70:71], v[178:179], s[30:31]
	v_mul_f64 v[152:153], v[172:173], s[30:31]
	;; [unrolled: 1-line block ×4, first 2 shown]
	v_add_f64 v[26:27], v[26:27], v[54:55]
	v_add_f64 v[24:25], v[28:29], v[24:25]
	v_fma_f64 v[28:29], v[140:141], s[12:13], v[40:41]
	v_mul_f64 v[140:141], v[180:181], s[38:39]
	v_mul_f64 v[54:55], v[188:189], s[24:25]
	v_add_f64 v[26:27], v[30:31], v[26:27]
	v_add_f64 v[24:25], v[32:33], v[24:25]
	v_fma_f64 v[30:31], v[138:139], s[12:13], -v[42:43]
	v_add_f64 v[138:139], v[106:107], v[82:83]
	v_mul_f64 v[42:43], v[172:173], s[26:27]
	v_add_f64 v[26:27], v[34:35], v[26:27]
	v_add_f64 v[24:25], v[28:29], v[24:25]
	v_fma_f64 v[28:29], v[136:137], s[14:15], -v[46:47]
	v_mul_f64 v[136:137], v[174:175], s[30:31]
	s_delay_alu instid0(VALU_DEP_4) | instskip(NEXT) | instid1(VALU_DEP_4)
	v_add_f64 v[26:27], v[30:31], v[26:27]
	v_add_f64 v[66:67], v[22:23], v[24:25]
	v_fma_f64 v[22:23], v[184:185], s[18:19], v[20:21]
	v_mul_f64 v[20:21], v[174:175], s[26:27]
	s_delay_alu instid0(VALU_DEP_4) | instskip(NEXT) | instid1(VALU_DEP_3)
	v_add_f64 v[68:69], v[28:29], v[26:27]
	v_add_f64 v[24:25], v[72:73], v[22:23]
	;; [unrolled: 1-line block ×3, first 2 shown]
	scratch_store_b64 off, v[20:21], off offset:320 ; 8-byte Folded Spill
	v_fma_f64 v[26:27], v[22:23], s[16:17], v[20:21]
	v_mul_f64 v[20:21], v[238:239], s[28:29]
	s_delay_alu instid0(VALU_DEP_2) | instskip(SKIP_3) | instid1(VALU_DEP_2)
	v_add_f64 v[24:25], v[26:27], v[24:25]
	scratch_store_b64 off, v[20:21], off offset:500 ; 8-byte Folded Spill
	v_fma_f64 v[26:27], v[196:197], s[18:19], -v[20:21]
	v_mul_f64 v[20:21], v[170:171], s[26:27]
	v_add_f64 v[26:27], v[74:75], v[26:27]
	scratch_store_b64 off, v[20:21], off offset:352 ; 8-byte Folded Spill
	v_fma_f64 v[28:29], v[138:139], s[16:17], -v[20:21]
	v_mul_f64 v[20:21], v[178:179], s[24:25]
	s_delay_alu instid0(VALU_DEP_2) | instskip(SKIP_3) | instid1(VALU_DEP_2)
	v_add_f64 v[26:27], v[28:29], v[26:27]
	scratch_store_b64 off, v[20:21], off offset:336 ; 8-byte Folded Spill
	v_fma_f64 v[28:29], v[134:135], s[14:15], v[20:21]
	v_mul_f64 v[20:21], v[172:173], s[24:25]
	v_add_f64 v[24:25], v[28:29], v[24:25]
	scratch_store_b64 off, v[20:21], off offset:384 ; 8-byte Folded Spill
	v_fma_f64 v[28:29], v[146:147], s[14:15], -v[20:21]
	v_mul_f64 v[20:21], v[180:181], s[20:21]
	s_delay_alu instid0(VALU_DEP_2) | instskip(SKIP_3) | instid1(VALU_DEP_2)
	v_add_f64 v[26:27], v[28:29], v[26:27]
	scratch_store_b64 off, v[20:21], off offset:368 ; 8-byte Folded Spill
	v_fma_f64 v[28:29], v[142:143], s[12:13], v[20:21]
	;; [unrolled: 9-line block ×4, first 2 shown]
	v_mul_f64 v[20:21], v[216:217], s[30:31]
	v_add_f64 v[28:29], v[28:29], v[24:25]
	s_delay_alu instid0(VALU_DEP_2) | instskip(NEXT) | instid1(VALU_DEP_1)
	v_fma_f64 v[24:25], v[166:167], s[2:3], -v[20:21]
	v_add_f64 v[30:31], v[24:25], v[26:27]
	scratch_store_b64 off, v[20:21], off offset:464 ; 8-byte Folded Spill
	v_fma_f64 v[24:25], v[184:185], s[16:17], v[50:51]
	v_mul_f64 v[20:21], v[174:175], s[20:21]
	scratch_store_b128 off, v[28:31], off offset:12 ; 16-byte Folded Spill
	v_fma_f64 v[28:29], v[138:139], s[12:13], -v[148:149]
	v_add_f64 v[24:25], v[72:73], v[24:25]
	v_fma_f64 v[26:27], v[22:23], s[12:13], v[20:21]
	scratch_store_b64 off, v[20:21], off offset:480 ; 8-byte Folded Spill
	v_mul_f64 v[20:21], v[216:217], s[36:37]
	v_add_f64 v[24:25], v[26:27], v[24:25]
	v_fma_f64 v[26:27], v[196:197], s[16:17], -v[52:53]
	s_delay_alu instid0(VALU_DEP_1) | instskip(NEXT) | instid1(VALU_DEP_1)
	v_add_f64 v[26:27], v[74:75], v[26:27]
	v_add_f64 v[26:27], v[28:29], v[26:27]
	v_fma_f64 v[28:29], v[134:135], s[2:3], v[70:71]
	s_delay_alu instid0(VALU_DEP_1) | instskip(SKIP_1) | instid1(VALU_DEP_1)
	v_add_f64 v[24:25], v[28:29], v[24:25]
	v_fma_f64 v[28:29], v[146:147], s[2:3], -v[152:153]
	v_add_f64 v[26:27], v[28:29], v[26:27]
	v_fma_f64 v[28:29], v[142:143], s[8:9], v[140:141]
	s_delay_alu instid0(VALU_DEP_1) | instskip(SKIP_1) | instid1(VALU_DEP_1)
	v_add_f64 v[24:25], v[28:29], v[24:25]
	v_fma_f64 v[28:29], v[154:155], s[8:9], -v[160:161]
	;; [unrolled: 5-line block ×4, first 2 shown]
	v_add_f64 v[30:31], v[24:25], v[26:27]
	v_fma_f64 v[24:25], v[184:185], s[14:15], v[54:55]
	v_fma_f64 v[26:27], v[22:23], s[2:3], v[136:137]
	scratch_store_b128 off, v[28:31], off offset:28 ; 16-byte Folded Spill
	v_add_f64 v[24:25], v[72:73], v[24:25]
	v_fma_f64 v[28:29], v[138:139], s[2:3], -v[228:229]
	s_delay_alu instid0(VALU_DEP_2) | instskip(SKIP_1) | instid1(VALU_DEP_1)
	v_add_f64 v[24:25], v[26:27], v[24:25]
	v_fma_f64 v[26:27], v[196:197], s[14:15], -v[56:57]
	v_add_f64 v[26:27], v[74:75], v[26:27]
	s_delay_alu instid0(VALU_DEP_1) | instskip(SKIP_1) | instid1(VALU_DEP_1)
	v_add_f64 v[26:27], v[28:29], v[26:27]
	v_fma_f64 v[28:29], v[134:135], s[12:13], v[214:215]
	v_add_f64 v[24:25], v[28:29], v[24:25]
	v_fma_f64 v[28:29], v[146:147], s[12:13], -v[232:233]
	s_delay_alu instid0(VALU_DEP_1) | instskip(SKIP_1) | instid1(VALU_DEP_1)
	v_add_f64 v[26:27], v[28:29], v[26:27]
	v_fma_f64 v[28:29], v[142:143], s[18:19], v[186:187]
	v_add_f64 v[24:25], v[28:29], v[24:25]
	v_fma_f64 v[28:29], v[154:155], s[18:19], -v[236:237]
	;; [unrolled: 5-line block ×4, first 2 shown]
	s_delay_alu instid0(VALU_DEP_1)
	v_add_f64 v[30:31], v[24:25], v[26:27]
	v_fma_f64 v[24:25], v[184:185], s[12:13], v[58:59]
	v_fma_f64 v[26:27], v[22:23], s[8:9], v[234:235]
	scratch_store_b128 off, v[28:31], off offset:44 ; 16-byte Folded Spill
	v_add_f64 v[24:25], v[72:73], v[24:25]
	v_fma_f64 v[28:29], v[138:139], s[8:9], -v[254:255]
	s_delay_alu instid0(VALU_DEP_2) | instskip(SKIP_1) | instid1(VALU_DEP_1)
	v_add_f64 v[24:25], v[26:27], v[24:25]
	v_fma_f64 v[26:27], v[196:197], s[12:13], -v[60:61]
	v_add_f64 v[26:27], v[74:75], v[26:27]
	s_delay_alu instid0(VALU_DEP_1) | instskip(SKIP_1) | instid1(VALU_DEP_1)
	v_add_f64 v[26:27], v[28:29], v[26:27]
	v_fma_f64 v[28:29], v[134:135], s[18:19], v[244:245]
	v_add_f64 v[28:29], v[28:29], v[24:25]
	v_mul_f64 v[24:25], v[172:173], s[36:37]
	s_delay_alu instid0(VALU_DEP_1) | instskip(NEXT) | instid1(VALU_DEP_1)
	v_fma_f64 v[30:31], v[146:147], s[18:19], -v[24:25]
	v_add_f64 v[26:27], v[30:31], v[26:27]
	v_fma_f64 v[30:31], v[142:143], s[14:15], v[250:251]
	s_delay_alu instid0(VALU_DEP_1) | instskip(SKIP_1) | instid1(VALU_DEP_1)
	v_add_f64 v[30:31], v[30:31], v[28:29]
	v_mul_f64 v[28:29], v[176:177], s[24:25]
	v_fma_f64 v[32:33], v[154:155], s[14:15], -v[28:29]
	s_delay_alu instid0(VALU_DEP_1) | instskip(SKIP_1) | instid1(VALU_DEP_1)
	v_add_f64 v[26:27], v[32:33], v[26:27]
	v_fma_f64 v[32:33], v[150:151], s[2:3], v[252:253]
	v_add_f64 v[30:31], v[32:33], v[30:31]
	v_fma_f64 v[32:33], v[162:163], s[2:3], -v[36:37]
	s_delay_alu instid0(VALU_DEP_1) | instskip(SKIP_1) | instid1(VALU_DEP_1)
	v_add_f64 v[26:27], v[32:33], v[26:27]
	v_fma_f64 v[32:33], v[158:159], s[16:17], v[246:247]
	v_add_f64 v[38:39], v[32:33], v[30:31]
	v_mul_f64 v[32:33], v[216:217], s[42:43]
	s_delay_alu instid0(VALU_DEP_1) | instskip(NEXT) | instid1(VALU_DEP_1)
	v_fma_f64 v[30:31], v[166:167], s[16:17], -v[32:33]
	v_add_f64 v[40:41], v[30:31], v[26:27]
	v_fma_f64 v[26:27], v[184:185], s[8:9], v[62:63]
	v_fma_f64 v[30:31], v[22:23], s[14:15], v[248:249]
	scratch_store_b128 off, v[38:41], off offset:60 ; 16-byte Folded Spill
	v_add_f64 v[26:27], v[72:73], v[26:27]
	v_mul_f64 v[40:41], v[170:171], s[34:35]
	s_delay_alu instid0(VALU_DEP_2) | instskip(SKIP_1) | instid1(VALU_DEP_3)
	v_add_f64 v[30:31], v[30:31], v[26:27]
	v_fma_f64 v[26:27], v[196:197], s[8:9], -v[64:65]
	v_fma_f64 v[34:35], v[138:139], s[14:15], -v[40:41]
	s_delay_alu instid0(VALU_DEP_2) | instskip(NEXT) | instid1(VALU_DEP_1)
	v_add_f64 v[26:27], v[74:75], v[26:27]
	v_add_f64 v[34:35], v[34:35], v[26:27]
	v_mul_f64 v[26:27], v[178:179], s[26:27]
	s_delay_alu instid0(VALU_DEP_1) | instskip(NEXT) | instid1(VALU_DEP_1)
	v_fma_f64 v[38:39], v[134:135], s[16:17], v[26:27]
	v_add_f64 v[30:31], v[38:39], v[30:31]
	v_fma_f64 v[38:39], v[146:147], s[16:17], -v[42:43]
	s_delay_alu instid0(VALU_DEP_1) | instskip(SKIP_1) | instid1(VALU_DEP_1)
	v_add_f64 v[38:39], v[38:39], v[34:35]
	v_mul_f64 v[34:35], v[180:181], s[44:45]
	v_fma_f64 v[44:45], v[142:143], s[2:3], v[34:35]
	s_delay_alu instid0(VALU_DEP_1) | instskip(SKIP_1) | instid1(VALU_DEP_1)
	v_add_f64 v[30:31], v[44:45], v[30:31]
	v_mul_f64 v[44:45], v[176:177], s[44:45]
	v_fma_f64 v[46:47], v[154:155], s[2:3], -v[44:45]
	s_delay_alu instid0(VALU_DEP_1) | instskip(SKIP_1) | instid1(VALU_DEP_1)
	v_add_f64 v[46:47], v[46:47], v[38:39]
	v_mul_f64 v[38:39], v[190:191], s[36:37]
	v_fma_f64 v[48:49], v[150:151], s[18:19], v[38:39]
	s_delay_alu instid0(VALU_DEP_1) | instskip(SKIP_1) | instid1(VALU_DEP_1)
	v_add_f64 v[164:165], v[48:49], v[30:31]
	v_mul_f64 v[48:49], v[182:183], s[36:37]
	;; [unrolled: 8-line block ×3, first 2 shown]
	v_fma_f64 v[164:165], v[166:167], s[12:13], -v[46:47]
	s_delay_alu instid0(VALU_DEP_1)
	v_add_f64 v[224:225], v[164:165], v[192:193]
	scratch_load_b32 v165, off, off         ; 4-byte Folded Reload
	v_lshlrev_b32_e32 v192, 4, v169
	scratch_store_b128 off, v[222:225], off offset:76 ; 16-byte Folded Spill
	s_waitcnt vmcnt(0)
	s_waitcnt_vscnt null, 0x0
	s_barrier
	buffer_gl0_inv
	v_mul_lo_u16 v164, v165, 13
	s_delay_alu instid0(VALU_DEP_1) | instskip(NEXT) | instid1(VALU_DEP_1)
	v_and_b32_e32 v164, 0xffff, v164
	v_lshl_add_u32 v169, v164, 4, v192
	ds_store_b128 v169, v[0:3]
	ds_store_b128 v169, v[8:11] offset:16
	ds_store_b128 v169, v[16:19] offset:32
	ds_store_b128 v169, v[128:131] offset:48
	ds_store_b128 v169, v[198:201] offset:64
	ds_store_b128 v169, v[206:209] offset:80
	ds_store_b128 v169, v[218:221] offset:96
	ds_store_b128 v169, v[66:69] offset:112
	ds_store_b128 v169, v[210:213] offset:128
	ds_store_b128 v169, v[202:205] offset:144
	ds_store_b128 v169, v[124:127] offset:160
	ds_store_b128 v169, v[12:15] offset:176
	ds_store_b128 v169, v[4:7] offset:192
	v_add_co_u32 v0, null, v165, 13
	v_mov_b32_e32 v164, v192
	s_delay_alu instid0(VALU_DEP_2)
	v_mul_u32_u24_e32 v0, 13, v0
	scratch_store_b32 off, v0, off offset:316 ; 4-byte Folded Spill
	s_and_saveexec_b32 s33, vcc_lo
	s_cbranch_execz .LBB0_7
; %bb.6:
	v_add_f64 v[0:1], v[74:75], v[98:99]
	v_add_f64 v[2:3], v[72:73], v[96:97]
	v_mul_f64 v[10:11], v[184:185], s[8:9]
	v_mul_f64 v[16:17], v[196:197], s[14:15]
	;; [unrolled: 1-line block ×6, first 2 shown]
	v_add_f64 v[0:1], v[0:1], v[106:107]
	v_add_f64 v[2:3], v[2:3], v[104:105]
	v_add_f64 v[10:11], v[10:11], -v[62:63]
	v_add_f64 v[16:17], v[56:57], v[16:17]
	s_clause 0x1
	scratch_load_b64 v[56:57], off, off offset:500
	scratch_load_b64 v[62:63], off, off offset:472
	v_add_f64 v[18:19], v[18:19], -v[54:55]
	v_mul_f64 v[54:55], v[196:197], s[16:17]
	v_add_f64 v[8:9], v[64:65], v[8:9]
	v_add_f64 v[12:13], v[60:61], v[12:13]
	v_add_f64 v[14:15], v[14:15], -v[58:59]
	v_mul_f64 v[60:61], v[184:185], s[18:19]
	v_add_f64 v[0:1], v[0:1], v[110:111]
	v_add_f64 v[2:3], v[2:3], v[108:109]
	;; [unrolled: 1-line block ×3, first 2 shown]
	v_mul_f64 v[10:11], v[174:175], s[36:37]
	v_add_f64 v[16:17], v[74:75], v[16:17]
	v_add_f64 v[18:19], v[72:73], v[18:19]
	;; [unrolled: 1-line block ×3, first 2 shown]
	v_mul_f64 v[54:55], v[184:185], s[16:17]
	v_add_f64 v[64:65], v[74:75], v[8:9]
	v_mul_f64 v[8:9], v[138:139], s[18:19]
	v_add_f64 v[68:69], v[74:75], v[12:13]
	v_add_f64 v[0:1], v[0:1], v[122:123]
	;; [unrolled: 1-line block ×4, first 2 shown]
	v_add_f64 v[50:51], v[54:55], -v[50:51]
	v_mul_f64 v[54:55], v[196:197], s[18:19]
	v_add_f64 v[0:1], v[0:1], v[118:119]
	v_add_f64 v[2:3], v[2:3], v[116:117]
	s_delay_alu instid0(VALU_DEP_2) | instskip(NEXT) | instid1(VALU_DEP_2)
	v_add_f64 v[0:1], v[0:1], v[114:115]
	v_add_f64 v[2:3], v[2:3], v[112:113]
	s_delay_alu instid0(VALU_DEP_2) | instskip(NEXT) | instid1(VALU_DEP_2)
	;; [unrolled: 3-line block ×5, first 2 shown]
	v_add_f64 v[0:1], v[0:1], v[86:87]
	v_add_f64 v[2:3], v[2:3], v[84:85]
	v_mul_f64 v[84:85], v[166:167], s[14:15]
	s_waitcnt vmcnt(1)
	v_add_f64 v[54:55], v[56:57], v[54:55]
	v_mul_f64 v[56:57], v[188:189], s[30:31]
	s_waitcnt vmcnt(0)
	v_add_f64 v[60:61], v[60:61], -v[62:63]
	v_add_f64 v[0:1], v[0:1], v[82:83]
	v_add_f64 v[4:5], v[2:3], v[80:81]
	v_mul_f64 v[82:83], v[194:195], s[34:35]
	v_add_f64 v[54:55], v[74:75], v[54:55]
	v_fma_f64 v[58:59], v[184:185], s[2:3], v[56:57]
	v_fma_f64 v[56:57], v[184:185], s[2:3], -v[56:57]
	v_add_f64 v[60:61], v[72:73], v[60:61]
	v_add_f64 v[2:3], v[0:1], v[78:79]
	;; [unrolled: 1-line block ×3, first 2 shown]
	v_mul_f64 v[4:5], v[196:197], s[2:3]
	v_add_f64 v[76:77], v[72:73], v[14:15]
	v_add_f64 v[14:15], v[72:73], v[50:51]
	v_mul_f64 v[50:51], v[146:147], s[8:9]
	v_add_f64 v[58:59], v[72:73], v[58:59]
	v_add_f64 v[56:57], v[72:73], v[56:57]
	v_fma_f64 v[6:7], v[238:239], s[44:45], v[4:5]
	v_fma_f64 v[4:5], v[238:239], s[30:31], v[4:5]
	;; [unrolled: 1-line block ×4, first 2 shown]
	s_delay_alu instid0(VALU_DEP_4) | instskip(NEXT) | instid1(VALU_DEP_4)
	v_add_f64 v[6:7], v[74:75], v[6:7]
	v_add_f64 v[62:63], v[74:75], v[4:5]
	v_fma_f64 v[4:5], v[170:171], s[28:29], v[8:9]
	v_fma_f64 v[8:9], v[170:171], s[36:37], v[8:9]
	s_delay_alu instid0(VALU_DEP_2) | instskip(SKIP_2) | instid1(VALU_DEP_4)
	v_add_f64 v[4:5], v[4:5], v[6:7]
	v_fma_f64 v[6:7], v[22:23], s[18:19], v[10:11]
	v_fma_f64 v[10:11], v[22:23], s[18:19], -v[10:11]
	v_add_f64 v[8:9], v[8:9], v[62:63]
	v_mul_f64 v[62:63], v[154:155], s[8:9]
	v_add_f64 v[4:5], v[52:53], v[4:5]
	v_mul_f64 v[52:53], v[178:179], s[22:23]
	v_add_f64 v[6:7], v[6:7], v[58:59]
	v_add_f64 v[10:11], v[10:11], v[56:57]
	scratch_load_b64 v[56:57], off, off offset:480 ; 8-byte Folded Reload
	v_add_f64 v[8:9], v[50:51], v[8:9]
	v_add_f64 v[62:63], v[160:161], v[62:63]
	v_fma_f64 v[58:59], v[134:135], s[8:9], v[52:53]
	v_fma_f64 v[50:51], v[134:135], s[8:9], -v[52:53]
	v_fma_f64 v[52:53], v[158:159], s[14:15], -v[82:83]
	s_delay_alu instid0(VALU_DEP_3) | instskip(SKIP_1) | instid1(VALU_DEP_4)
	v_add_f64 v[6:7], v[58:59], v[6:7]
	v_mul_f64 v[58:59], v[154:155], s[16:17]
	v_add_f64 v[10:11], v[50:51], v[10:11]
	s_delay_alu instid0(VALU_DEP_2) | instskip(SKIP_1) | instid1(VALU_DEP_2)
	v_fma_f64 v[72:73], v[176:177], s[26:27], v[58:59]
	v_fma_f64 v[58:59], v[176:177], s[42:43], v[58:59]
	v_add_f64 v[4:5], v[72:73], v[4:5]
	v_mul_f64 v[72:73], v[180:181], s[42:43]
	s_delay_alu instid0(VALU_DEP_3) | instskip(SKIP_1) | instid1(VALU_DEP_3)
	v_add_f64 v[8:9], v[58:59], v[8:9]
	v_mul_f64 v[58:59], v[134:135], s[2:3]
	v_fma_f64 v[74:75], v[142:143], s[16:17], v[72:73]
	v_fma_f64 v[50:51], v[142:143], s[16:17], -v[72:73]
	s_delay_alu instid0(VALU_DEP_3)
	v_add_f64 v[58:59], v[58:59], -v[70:71]
	v_mul_f64 v[70:71], v[142:143], s[8:9]
	v_mul_f64 v[72:73], v[162:163], s[14:15]
	v_add_f64 v[6:7], v[74:75], v[6:7]
	v_mul_f64 v[74:75], v[162:163], s[12:13]
	v_add_f64 v[10:11], v[50:51], v[10:11]
	v_add_f64 v[70:71], v[70:71], -v[140:141]
	v_add_f64 v[72:73], v[230:231], v[72:73]
	s_delay_alu instid0(VALU_DEP_4) | instskip(SKIP_1) | instid1(VALU_DEP_2)
	v_fma_f64 v[78:79], v[182:183], s[40:41], v[74:75]
	v_fma_f64 v[74:75], v[182:183], s[20:21], v[74:75]
	v_add_f64 v[4:5], v[78:79], v[4:5]
	v_mul_f64 v[78:79], v[190:191], s[20:21]
	s_delay_alu instid0(VALU_DEP_3) | instskip(NEXT) | instid1(VALU_DEP_2)
	v_add_f64 v[8:9], v[74:75], v[8:9]
	v_fma_f64 v[80:81], v[150:151], s[12:13], v[78:79]
	v_fma_f64 v[50:51], v[150:151], s[12:13], -v[78:79]
	s_delay_alu instid0(VALU_DEP_2) | instskip(SKIP_1) | instid1(VALU_DEP_3)
	v_add_f64 v[80:81], v[80:81], v[6:7]
	v_fma_f64 v[6:7], v[216:217], s[24:25], v[84:85]
	v_add_f64 v[50:51], v[50:51], v[10:11]
	s_delay_alu instid0(VALU_DEP_2) | instskip(SKIP_1) | instid1(VALU_DEP_1)
	v_add_f64 v[6:7], v[6:7], v[4:5]
	v_fma_f64 v[4:5], v[158:159], s[14:15], v[82:83]
	v_add_f64 v[4:5], v[4:5], v[80:81]
	v_fma_f64 v[80:81], v[216:217], s[34:35], v[84:85]
	s_delay_alu instid0(VALU_DEP_1) | instskip(SKIP_3) | instid1(VALU_DEP_2)
	v_add_f64 v[10:11], v[80:81], v[8:9]
	v_add_f64 v[8:9], v[52:53], v[50:51]
	v_mul_f64 v[50:51], v[138:139], s[12:13]
	v_mul_f64 v[52:53], v[22:23], s[12:13]
	v_add_f64 v[50:51], v[148:149], v[50:51]
	s_waitcnt vmcnt(0)
	s_delay_alu instid0(VALU_DEP_2) | instskip(SKIP_1) | instid1(VALU_DEP_3)
	v_add_f64 v[52:53], v[52:53], -v[56:57]
	v_mul_f64 v[56:57], v[146:147], s[2:3]
	v_add_f64 v[12:13], v[50:51], v[12:13]
	s_delay_alu instid0(VALU_DEP_3) | instskip(NEXT) | instid1(VALU_DEP_3)
	v_add_f64 v[14:15], v[52:53], v[14:15]
	v_add_f64 v[56:57], v[152:153], v[56:57]
	v_mul_f64 v[50:51], v[150:151], s[14:15]
	v_mul_f64 v[52:53], v[166:167], s[18:19]
	s_delay_alu instid0(VALU_DEP_4) | instskip(NEXT) | instid1(VALU_DEP_4)
	v_add_f64 v[14:15], v[58:59], v[14:15]
	v_add_f64 v[12:13], v[56:57], v[12:13]
	s_delay_alu instid0(VALU_DEP_4)
	v_add_f64 v[50:51], v[50:51], -v[144:145]
	v_mul_f64 v[56:57], v[158:159], s[18:19]
	v_add_f64 v[52:53], v[20:21], v[52:53]
	v_mul_f64 v[58:59], v[134:135], s[12:13]
	scratch_load_b64 v[20:21], off, off offset:352 ; 8-byte Folded Reload
	v_add_f64 v[14:15], v[70:71], v[14:15]
	v_add_f64 v[12:13], v[62:63], v[12:13]
	v_mul_f64 v[62:63], v[154:155], s[18:19]
	v_add_f64 v[56:57], v[56:57], -v[132:133]
	v_mul_f64 v[70:71], v[142:143], s[18:19]
	v_add_f64 v[58:59], v[58:59], -v[214:215]
	v_add_f64 v[50:51], v[50:51], v[14:15]
	v_add_f64 v[12:13], v[72:73], v[12:13]
	;; [unrolled: 1-line block ×3, first 2 shown]
	v_mul_f64 v[72:73], v[162:163], s[16:17]
	v_add_f64 v[70:71], v[70:71], -v[186:187]
	s_delay_alu instid0(VALU_DEP_4)
	v_add_f64 v[14:15], v[52:53], v[12:13]
	v_add_f64 v[12:13], v[56:57], v[50:51]
	v_mul_f64 v[50:51], v[138:139], s[2:3]
	v_mul_f64 v[52:53], v[22:23], s[2:3]
	;; [unrolled: 1-line block ×3, first 2 shown]
	v_add_f64 v[72:73], v[240:241], v[72:73]
	s_delay_alu instid0(VALU_DEP_4) | instskip(NEXT) | instid1(VALU_DEP_4)
	v_add_f64 v[50:51], v[228:229], v[50:51]
	v_add_f64 v[52:53], v[52:53], -v[136:137]
	s_delay_alu instid0(VALU_DEP_4) | instskip(NEXT) | instid1(VALU_DEP_3)
	v_add_f64 v[56:57], v[232:233], v[56:57]
	v_add_f64 v[16:17], v[50:51], v[16:17]
	s_delay_alu instid0(VALU_DEP_3) | instskip(SKIP_2) | instid1(VALU_DEP_4)
	v_add_f64 v[18:19], v[52:53], v[18:19]
	v_mul_f64 v[50:51], v[150:151], s[16:17]
	v_mul_f64 v[52:53], v[166:167], s[8:9]
	v_add_f64 v[16:17], v[56:57], v[16:17]
	s_delay_alu instid0(VALU_DEP_4) | instskip(NEXT) | instid1(VALU_DEP_4)
	v_add_f64 v[18:19], v[58:59], v[18:19]
	v_add_f64 v[50:51], v[50:51], -v[226:227]
	v_mul_f64 v[56:57], v[158:159], s[8:9]
	v_add_f64 v[52:53], v[242:243], v[52:53]
	v_mul_f64 v[58:59], v[154:155], s[14:15]
	v_add_f64 v[16:17], v[62:63], v[16:17]
	v_add_f64 v[18:19], v[70:71], v[18:19]
	v_mul_f64 v[62:63], v[162:163], s[2:3]
	v_add_f64 v[56:57], v[56:57], -v[156:157]
	v_add_f64 v[28:29], v[28:29], v[58:59]
	v_mul_f64 v[58:59], v[142:143], s[14:15]
	v_add_f64 v[16:17], v[72:73], v[16:17]
	v_add_f64 v[50:51], v[50:51], v[18:19]
	;; [unrolled: 1-line block ×3, first 2 shown]
	v_mul_f64 v[62:63], v[150:151], s[2:3]
	v_add_f64 v[58:59], v[58:59], -v[250:251]
	v_add_f64 v[18:19], v[52:53], v[16:17]
	v_add_f64 v[16:17], v[56:57], v[50:51]
	v_mul_f64 v[50:51], v[138:139], s[8:9]
	v_mul_f64 v[52:53], v[22:23], s[8:9]
	;; [unrolled: 1-line block ×3, first 2 shown]
	v_add_f64 v[62:63], v[62:63], -v[252:253]
	s_delay_alu instid0(VALU_DEP_4) | instskip(NEXT) | instid1(VALU_DEP_4)
	v_add_f64 v[50:51], v[254:255], v[50:51]
	v_add_f64 v[52:53], v[52:53], -v[234:235]
	s_delay_alu instid0(VALU_DEP_4) | instskip(SKIP_1) | instid1(VALU_DEP_4)
	v_add_f64 v[24:25], v[24:25], v[56:57]
	v_mul_f64 v[56:57], v[134:135], s[18:19]
	v_add_f64 v[50:51], v[50:51], v[68:69]
	s_delay_alu instid0(VALU_DEP_4) | instskip(NEXT) | instid1(VALU_DEP_3)
	v_add_f64 v[52:53], v[52:53], v[76:77]
	v_add_f64 v[56:57], v[56:57], -v[244:245]
	s_delay_alu instid0(VALU_DEP_3) | instskip(NEXT) | instid1(VALU_DEP_2)
	v_add_f64 v[24:25], v[24:25], v[50:51]
	v_add_f64 v[50:51], v[56:57], v[52:53]
	v_mul_f64 v[52:53], v[166:167], s[16:17]
	s_delay_alu instid0(VALU_DEP_3) | instskip(NEXT) | instid1(VALU_DEP_3)
	v_add_f64 v[24:25], v[28:29], v[24:25]
	v_add_f64 v[28:29], v[58:59], v[50:51]
	s_delay_alu instid0(VALU_DEP_3) | instskip(SKIP_1) | instid1(VALU_DEP_4)
	v_add_f64 v[32:33], v[32:33], v[52:53]
	v_mul_f64 v[50:51], v[158:159], s[16:17]
	v_add_f64 v[24:25], v[36:37], v[24:25]
	v_mul_f64 v[36:37], v[134:135], s[16:17]
	v_add_f64 v[28:29], v[62:63], v[28:29]
	s_delay_alu instid0(VALU_DEP_4) | instskip(NEXT) | instid1(VALU_DEP_4)
	v_add_f64 v[50:51], v[50:51], -v[246:247]
	v_add_f64 v[52:53], v[32:33], v[24:25]
	v_mul_f64 v[24:25], v[138:139], s[14:15]
	v_mul_f64 v[32:33], v[146:147], s[16:17]
	v_add_f64 v[26:27], v[36:37], -v[26:27]
	v_mul_f64 v[36:37], v[154:155], s[2:3]
	v_add_f64 v[50:51], v[50:51], v[28:29]
	v_mul_f64 v[28:29], v[22:23], s[14:15]
	v_mul_f64 v[22:23], v[22:23], s[16:17]
	v_add_f64 v[24:25], v[40:41], v[24:25]
	v_add_f64 v[32:33], v[42:43], v[32:33]
	v_mul_f64 v[40:41], v[142:143], s[2:3]
	v_add_f64 v[36:37], v[44:45], v[36:37]
	v_mul_f64 v[42:43], v[150:151], s[18:19]
	v_add_f64 v[28:29], v[28:29], -v[248:249]
	v_add_f64 v[24:25], v[24:25], v[64:65]
	v_add_f64 v[34:35], v[40:41], -v[34:35]
	v_mul_f64 v[40:41], v[162:163], s[18:19]
	v_add_f64 v[38:39], v[42:43], -v[38:39]
	v_add_f64 v[28:29], v[28:29], v[66:67]
	v_add_f64 v[24:25], v[32:33], v[24:25]
	v_mul_f64 v[32:33], v[158:159], s[12:13]
	v_add_f64 v[40:41], v[48:49], v[40:41]
	s_delay_alu instid0(VALU_DEP_4)
	v_add_f64 v[26:27], v[26:27], v[28:29]
	v_mul_f64 v[28:29], v[166:167], s[12:13]
	v_add_f64 v[24:25], v[36:37], v[24:25]
	v_add_f64 v[30:31], v[32:33], -v[30:31]
	v_mul_f64 v[36:37], v[142:143], s[12:13]
	v_add_f64 v[26:27], v[34:35], v[26:27]
	v_add_f64 v[28:29], v[46:47], v[28:29]
	v_mul_f64 v[34:35], v[154:155], s[12:13]
	v_add_f64 v[24:25], v[40:41], v[24:25]
	v_mul_f64 v[40:41], v[150:151], s[8:9]
	;; [unrolled: 2-line block ×3, first 2 shown]
	s_delay_alu instid0(VALU_DEP_4) | instskip(SKIP_1) | instid1(VALU_DEP_4)
	v_add_f64 v[26:27], v[28:29], v[24:25]
	v_mul_f64 v[28:29], v[138:139], s[16:17]
	v_add_f64 v[24:25], v[30:31], v[32:33]
	v_mul_f64 v[30:31], v[146:147], s[14:15]
	v_mul_f64 v[32:33], v[134:135], s[14:15]
	s_waitcnt vmcnt(0)
	s_delay_alu instid0(VALU_DEP_4)
	v_add_f64 v[28:29], v[20:21], v[28:29]
	scratch_load_b64 v[20:21], off, off offset:320 ; 8-byte Folded Reload
	v_add_f64 v[28:29], v[28:29], v[54:55]
	s_waitcnt vmcnt(0)
	v_add_f64 v[22:23], v[22:23], -v[20:21]
	scratch_load_b64 v[20:21], off, off offset:384 ; 8-byte Folded Reload
	v_add_f64 v[22:23], v[22:23], v[60:61]
	s_waitcnt vmcnt(0)
	v_add_f64 v[30:31], v[20:21], v[30:31]
	scratch_load_b64 v[20:21], off, off offset:336 ; 8-byte Folded Reload
	v_add_f64 v[28:29], v[30:31], v[28:29]
	v_mul_f64 v[30:31], v[166:167], s[2:3]
	s_waitcnt vmcnt(0)
	v_add_f64 v[32:33], v[32:33], -v[20:21]
	scratch_load_b64 v[20:21], off, off offset:416 ; 8-byte Folded Reload
	v_add_f64 v[22:23], v[32:33], v[22:23]
	v_mul_f64 v[32:33], v[158:159], s[2:3]
	s_waitcnt vmcnt(0)
	v_add_f64 v[34:35], v[20:21], v[34:35]
	scratch_load_b64 v[20:21], off, off offset:368 ; 8-byte Folded Reload
	v_add_f64 v[28:29], v[34:35], v[28:29]
	s_waitcnt vmcnt(0)
	v_add_f64 v[36:37], v[36:37], -v[20:21]
	scratch_load_b64 v[20:21], off, off offset:448 ; 8-byte Folded Reload
	v_add_f64 v[22:23], v[36:37], v[22:23]
	s_waitcnt vmcnt(0)
	v_add_f64 v[38:39], v[20:21], v[38:39]
	scratch_load_b64 v[20:21], off, off offset:400 ; 8-byte Folded Reload
	v_add_f64 v[28:29], v[38:39], v[28:29]
	s_waitcnt vmcnt(0)
	v_add_f64 v[40:41], v[40:41], -v[20:21]
	scratch_load_b64 v[20:21], off, off offset:464 ; 8-byte Folded Reload
	v_add_f64 v[22:23], v[40:41], v[22:23]
	s_waitcnt vmcnt(0)
	v_add_f64 v[30:31], v[20:21], v[30:31]
	scratch_load_b64 v[20:21], off, off offset:432 ; 8-byte Folded Reload
	v_add_f64 v[30:31], v[30:31], v[28:29]
	s_waitcnt vmcnt(0)
	v_add_f64 v[32:33], v[32:33], -v[20:21]
	s_delay_alu instid0(VALU_DEP_1)
	v_add_f64 v[28:29], v[32:33], v[22:23]
	scratch_load_b32 v22, off, off offset:316 ; 4-byte Folded Reload
	s_waitcnt vmcnt(0)
	v_lshl_add_u32 v22, v22, 4, v164
	ds_store_b128 v22, v[12:15] offset:32
	ds_store_b128 v22, v[16:19] offset:48
	;; [unrolled: 1-line block ×5, first 2 shown]
	scratch_load_b128 v[8:11], off, off offset:76 ; 16-byte Folded Reload
	s_waitcnt vmcnt(0)
	ds_store_b128 v22, v[8:11] offset:128
	scratch_load_b128 v[8:11], off, off offset:60 ; 16-byte Folded Reload
	s_waitcnt vmcnt(0)
	ds_store_b128 v22, v[8:11] offset:144
	;; [unrolled: 3-line block ×4, first 2 shown]
	ds_store_b128 v22, v[4:7] offset:112
	ds_store_b128 v22, v[28:31] offset:16
	ds_store_b128 v22, v[0:3]
	scratch_load_b128 v[0:3], off, off offset:12 ; 16-byte Folded Reload
	s_waitcnt vmcnt(0)
	ds_store_b128 v22, v[0:3] offset:192
.LBB0_7:
	s_or_b32 exec_lo, exec_lo, s33
	scratch_load_b32 v84, off, off          ; 4-byte Folded Reload
	s_waitcnt vmcnt(0) lgkmcnt(0)
	s_waitcnt_vscnt null, 0x0
	s_barrier
	buffer_gl0_inv
	s_mov_b32 s2, 0xe8584caa
	s_mov_b32 s3, 0x3febb67a
	;; [unrolled: 1-line block ×18, first 2 shown]
	v_lshlrev_b32_e32 v0, 5, v84
	s_clause 0x1
	global_load_b128 v[76:79], v0, s[0:1]
	global_load_b128 v[72:75], v0, s[0:1] offset:16
	ds_load_b128 v[0:3], v168 offset:1456
	ds_load_b128 v[4:7], v168 offset:2912
	;; [unrolled: 1-line block ×3, first 2 shown]
	s_waitcnt vmcnt(1) lgkmcnt(2)
	v_mul_f64 v[12:13], v[2:3], v[78:79]
	v_mul_f64 v[14:15], v[0:1], v[78:79]
	s_waitcnt vmcnt(0) lgkmcnt(1)
	v_mul_f64 v[16:17], v[6:7], v[74:75]
	v_mul_f64 v[18:19], v[4:5], v[74:75]
	s_delay_alu instid0(VALU_DEP_4) | instskip(NEXT) | instid1(VALU_DEP_4)
	v_fma_f64 v[47:48], v[0:1], v[76:77], -v[12:13]
	v_fma_f64 v[49:50], v[2:3], v[76:77], v[14:15]
	ds_load_b128 v[0:3], v168 offset:3120
	v_fma_f64 v[51:52], v[4:5], v[72:73], -v[16:17]
	v_fma_f64 v[53:54], v[6:7], v[72:73], v[18:19]
	v_add_nc_u16 v14, v84, 26
	s_delay_alu instid0(VALU_DEP_1) | instskip(SKIP_3) | instid1(VALU_DEP_2)
	v_and_b32_e32 v15, 0xff, v14
	s_waitcnt lgkmcnt(0)
	v_mul_f64 v[4:5], v[2:3], v[74:75]
	v_mul_f64 v[6:7], v[0:1], v[74:75]
	v_fma_f64 v[63:64], v[0:1], v[72:73], -v[4:5]
	s_delay_alu instid0(VALU_DEP_2) | instskip(SKIP_3) | instid1(VALU_DEP_2)
	v_fma_f64 v[65:66], v[2:3], v[72:73], v[6:7]
	ds_load_b128 v[2:5], v168 offset:1872
	v_mul_f64 v[22:23], v[10:11], v[78:79]
	v_mul_f64 v[12:13], v[8:9], v[78:79]
	v_fma_f64 v[59:60], v[8:9], v[76:77], -v[22:23]
	v_mul_lo_u16 v8, 0x4f, v15
	s_delay_alu instid0(VALU_DEP_3) | instskip(SKIP_2) | instid1(VALU_DEP_1)
	v_fma_f64 v[61:62], v[10:11], v[76:77], v[12:13]
	ds_load_b128 v[22:25], v168 offset:2288
	v_lshrrev_b16 v8, 10, v8
	v_mul_lo_u16 v8, v8, 13
	s_delay_alu instid0(VALU_DEP_1) | instskip(NEXT) | instid1(VALU_DEP_1)
	v_sub_nc_u16 v38, v14, v8
	v_lshlrev_b16 v8, 1, v38
	v_and_b32_e32 v38, 0xff, v38
	s_delay_alu instid0(VALU_DEP_2) | instskip(NEXT) | instid1(VALU_DEP_1)
	v_and_b32_e32 v8, 0xfe, v8
	v_lshlrev_b32_e32 v8, 4, v8
	global_load_b128 v[9:12], v8, s[0:1]
	v_add_f64 v[67:68], v[59:60], v[63:64]
	v_add_f64 v[69:70], v[61:62], v[65:66]
	s_waitcnt vmcnt(0) lgkmcnt(1)
	v_mul_f64 v[0:1], v[4:5], v[11:12]
	scratch_store_b128 off, v[9:12], off offset:384 ; 16-byte Folded Spill
	v_fma_f64 v[0:1], v[2:3], v[9:10], -v[0:1]
	v_mul_f64 v[2:3], v[2:3], v[11:12]
	s_delay_alu instid0(VALU_DEP_1) | instskip(SKIP_4) | instid1(VALU_DEP_1)
	v_fma_f64 v[2:3], v[4:5], v[9:10], v[2:3]
	global_load_b128 v[10:13], v8, s[0:1] offset:16
	ds_load_b128 v[6:9], v168 offset:3328
	s_waitcnt vmcnt(0) lgkmcnt(0)
	v_mul_f64 v[4:5], v[8:9], v[12:13]
	v_fma_f64 v[4:5], v[6:7], v[10:11], -v[4:5]
	v_mul_f64 v[6:7], v[6:7], v[12:13]
	s_delay_alu instid0(VALU_DEP_1) | instskip(SKIP_1) | instid1(VALU_DEP_1)
	v_fma_f64 v[8:9], v[8:9], v[10:11], v[6:7]
	v_add_nc_u16 v6, v84, 39
	v_and_b32_e32 v7, 0xff, v6
	s_delay_alu instid0(VALU_DEP_1) | instskip(NEXT) | instid1(VALU_DEP_1)
	v_mul_lo_u16 v7, 0x4f, v7
	v_lshrrev_b16 v7, 10, v7
	s_delay_alu instid0(VALU_DEP_1) | instskip(NEXT) | instid1(VALU_DEP_1)
	v_mul_lo_u16 v7, v7, 13
	v_sub_nc_u16 v39, v6, v7
	s_delay_alu instid0(VALU_DEP_1) | instskip(NEXT) | instid1(VALU_DEP_1)
	v_lshlrev_b16 v6, 1, v39
	v_and_b32_e32 v6, 0xfe, v6
	s_delay_alu instid0(VALU_DEP_1)
	v_lshlrev_b32_e32 v14, 4, v6
	global_load_b128 v[15:18], v14, s[0:1]
	scratch_store_b128 off, v[10:13], off offset:336 ; 16-byte Folded Spill
	ds_load_b128 v[10:13], v168 offset:2080
	s_waitcnt vmcnt(0) lgkmcnt(0)
	v_mul_f64 v[6:7], v[12:13], v[17:18]
	scratch_store_b128 off, v[15:18], off offset:368 ; 16-byte Folded Spill
	v_fma_f64 v[6:7], v[10:11], v[15:16], -v[6:7]
	v_mul_f64 v[10:11], v[10:11], v[17:18]
	global_load_b128 v[18:21], v14, s[0:1] offset:16
	v_fma_f64 v[10:11], v[12:13], v[15:16], v[10:11]
	ds_load_b128 v[14:17], v168 offset:3536
	s_waitcnt vmcnt(0) lgkmcnt(0)
	v_mul_f64 v[12:13], v[16:17], v[20:21]
	s_delay_alu instid0(VALU_DEP_1) | instskip(SKIP_1) | instid1(VALU_DEP_1)
	v_fma_f64 v[12:13], v[14:15], v[18:19], -v[12:13]
	v_mul_f64 v[14:15], v[14:15], v[20:21]
	v_fma_f64 v[16:17], v[16:17], v[18:19], v[14:15]
	v_add_nc_u16 v14, v84, 52
	s_delay_alu instid0(VALU_DEP_1) | instskip(NEXT) | instid1(VALU_DEP_1)
	v_and_b32_e32 v15, 0xff, v14
	v_mul_lo_u16 v15, 0x4f, v15
	s_delay_alu instid0(VALU_DEP_1) | instskip(NEXT) | instid1(VALU_DEP_1)
	v_lshrrev_b16 v15, 10, v15
	v_mul_lo_u16 v15, v15, 13
	s_delay_alu instid0(VALU_DEP_1) | instskip(NEXT) | instid1(VALU_DEP_1)
	v_sub_nc_u16 v40, v14, v15
	v_lshlrev_b16 v14, 1, v40
	s_delay_alu instid0(VALU_DEP_1) | instskip(NEXT) | instid1(VALU_DEP_1)
	v_and_b32_e32 v14, 0xfe, v14
	v_lshlrev_b32_e32 v26, 4, v14
	global_load_b128 v[27:30], v26, s[0:1]
	scratch_store_b128 off, v[18:21], off offset:352 ; 16-byte Folded Spill
	s_waitcnt vmcnt(0)
	scratch_store_b128 off, v[27:30], off offset:400 ; 16-byte Folded Spill
	v_mul_f64 v[14:15], v[24:25], v[29:30]
	v_mul_f64 v[18:19], v[22:23], v[29:30]
	s_delay_alu instid0(VALU_DEP_2) | instskip(NEXT) | instid1(VALU_DEP_2)
	v_fma_f64 v[14:15], v[22:23], v[27:28], -v[14:15]
	v_fma_f64 v[18:19], v[24:25], v[27:28], v[18:19]
	global_load_b128 v[28:31], v26, s[0:1] offset:16
	ds_load_b128 v[24:27], v168 offset:3744
	s_waitcnt vmcnt(0) lgkmcnt(0)
	v_mul_f64 v[22:23], v[26:27], v[30:31]
	s_delay_alu instid0(VALU_DEP_1) | instskip(SKIP_1) | instid1(VALU_DEP_1)
	v_fma_f64 v[22:23], v[24:25], v[28:29], -v[22:23]
	v_mul_f64 v[24:25], v[24:25], v[30:31]
	v_fma_f64 v[26:27], v[26:27], v[28:29], v[24:25]
	v_add_nc_u16 v24, v84, 0x41
	s_delay_alu instid0(VALU_DEP_1) | instskip(NEXT) | instid1(VALU_DEP_1)
	v_and_b32_e32 v25, 0xff, v24
	v_mul_lo_u16 v25, 0x4f, v25
	s_delay_alu instid0(VALU_DEP_1) | instskip(NEXT) | instid1(VALU_DEP_1)
	v_lshrrev_b16 v25, 10, v25
	v_mul_lo_u16 v25, v25, 13
	s_delay_alu instid0(VALU_DEP_1) | instskip(NEXT) | instid1(VALU_DEP_1)
	v_sub_nc_u16 v41, v24, v25
	v_lshlrev_b16 v24, 1, v41
	s_delay_alu instid0(VALU_DEP_1) | instskip(NEXT) | instid1(VALU_DEP_1)
	v_and_b32_e32 v24, 0xfe, v24
	v_lshlrev_b32_e32 v32, 4, v24
	s_clause 0x1
	global_load_b128 v[33:36], v32, s[0:1]
	global_load_b128 v[42:45], v32, s[0:1] offset:16
	scratch_store_b128 off, v[28:31], off offset:416 ; 16-byte Folded Spill
	ds_load_b128 v[28:31], v168 offset:2496
	s_waitcnt vmcnt(1)
	scratch_store_b128 off, v[33:36], off offset:432 ; 16-byte Folded Spill
	s_waitcnt lgkmcnt(0)
	v_mul_f64 v[24:25], v[30:31], v[35:36]
	s_waitcnt vmcnt(0)
	scratch_store_b128 off, v[42:45], off offset:448 ; 16-byte Folded Spill
	v_fma_f64 v[24:25], v[28:29], v[33:34], -v[24:25]
	v_mul_f64 v[28:29], v[28:29], v[35:36]
	s_delay_alu instid0(VALU_DEP_1) | instskip(SKIP_3) | instid1(VALU_DEP_1)
	v_fma_f64 v[28:29], v[30:31], v[33:34], v[28:29]
	ds_load_b128 v[32:35], v168 offset:3952
	s_waitcnt lgkmcnt(0)
	v_mul_f64 v[30:31], v[34:35], v[44:45]
	v_fma_f64 v[30:31], v[32:33], v[42:43], -v[30:31]
	v_mul_f64 v[32:33], v[32:33], v[44:45]
	s_delay_alu instid0(VALU_DEP_1) | instskip(SKIP_3) | instid1(VALU_DEP_1)
	v_fma_f64 v[34:35], v[34:35], v[42:43], v[32:33]
	v_add_nc_u16 v32, v84, 0x4e
	ds_load_b128 v[43:46], v168 offset:2704
	v_and_b32_e32 v33, 0xff, v32
	v_mul_lo_u16 v33, 0x4f, v33
	s_delay_alu instid0(VALU_DEP_1) | instskip(NEXT) | instid1(VALU_DEP_1)
	v_lshrrev_b16 v33, 10, v33
	v_mul_lo_u16 v33, v33, 13
	s_delay_alu instid0(VALU_DEP_1) | instskip(NEXT) | instid1(VALU_DEP_1)
	v_sub_nc_u16 v42, v32, v33
	v_lshlrev_b16 v32, 1, v42
	s_delay_alu instid0(VALU_DEP_1) | instskip(NEXT) | instid1(VALU_DEP_1)
	v_and_b32_e32 v32, 0xfe, v32
	v_lshlrev_b32_e32 v71, 4, v32
	s_clause 0x1
	global_load_b128 v[55:58], v71, s[0:1]
	global_load_b128 v[128:131], v71, s[0:1] offset:16
	s_waitcnt vmcnt(1) lgkmcnt(0)
	v_mul_f64 v[32:33], v[45:46], v[57:58]
	v_mul_f64 v[36:37], v[43:44], v[57:58]
	scratch_store_b128 off, v[55:58], off offset:320 ; 16-byte Folded Spill
	v_add_f64 v[57:58], v[49:50], v[53:54]
	v_fma_f64 v[32:33], v[43:44], v[55:56], -v[32:33]
	v_fma_f64 v[36:37], v[45:46], v[55:56], v[36:37]
	ds_load_b128 v[43:46], v168
	v_add_f64 v[55:56], v[47:48], v[51:52]
	s_waitcnt lgkmcnt(0)
	v_fma_f64 v[57:58], v[57:58], -0.5, v[45:46]
	v_add_f64 v[45:46], v[45:46], v[49:50]
	v_add_f64 v[49:50], v[49:50], -v[53:54]
	s_delay_alu instid0(VALU_DEP_4) | instskip(SKIP_1) | instid1(VALU_DEP_4)
	v_fma_f64 v[55:56], v[55:56], -0.5, v[43:44]
	v_add_f64 v[43:44], v[43:44], v[47:48]
	v_add_f64 v[45:46], v[45:46], v[53:54]
	v_add_f64 v[53:54], v[47:48], -v[51:52]
	s_delay_alu instid0(VALU_DEP_4) | instskip(NEXT) | instid1(VALU_DEP_4)
	v_fma_f64 v[47:48], v[49:50], s[2:3], v[55:56]
	v_add_f64 v[43:44], v[43:44], v[51:52]
	v_fma_f64 v[51:52], v[49:50], s[8:9], v[55:56]
	s_delay_alu instid0(VALU_DEP_4)
	v_fma_f64 v[49:50], v[53:54], s[8:9], v[57:58]
	v_fma_f64 v[53:54], v[53:54], s[2:3], v[57:58]
	ds_load_b128 v[55:58], v168 offset:208
	s_waitcnt lgkmcnt(0)
	v_fma_f64 v[69:70], v[69:70], -0.5, v[57:58]
	v_add_f64 v[57:58], v[57:58], v[61:62]
	v_fma_f64 v[67:68], v[67:68], -0.5, v[55:56]
	v_add_f64 v[55:56], v[55:56], v[59:60]
	v_add_f64 v[61:62], v[61:62], -v[65:66]
	s_delay_alu instid0(VALU_DEP_4) | instskip(SKIP_1) | instid1(VALU_DEP_4)
	v_add_f64 v[57:58], v[57:58], v[65:66]
	v_add_f64 v[65:66], v[59:60], -v[63:64]
	v_add_f64 v[55:56], v[55:56], v[63:64]
	s_delay_alu instid0(VALU_DEP_4) | instskip(SKIP_1) | instid1(VALU_DEP_4)
	v_fma_f64 v[59:60], v[61:62], s[2:3], v[67:68]
	v_fma_f64 v[63:64], v[61:62], s[8:9], v[67:68]
	;; [unrolled: 1-line block ×4, first 2 shown]
	ds_load_b128 v[67:70], v168 offset:4160
	s_waitcnt vmcnt(0) lgkmcnt(0)
	v_mul_f64 v[80:81], v[69:70], v[130:131]
	s_delay_alu instid0(VALU_DEP_1) | instskip(SKIP_1) | instid1(VALU_DEP_1)
	v_fma_f64 v[80:81], v[67:68], v[128:129], -v[80:81]
	v_mul_f64 v[67:68], v[67:68], v[130:131]
	v_fma_f64 v[82:83], v[69:70], v[128:129], v[67:68]
	ds_load_b128 v[67:70], v168 offset:1248
	ds_load_b128 v[116:119], v168 offset:416
	;; [unrolled: 1-line block ×5, first 2 shown]
	s_waitcnt lgkmcnt(0)
	s_waitcnt_vscnt null, 0x0
	s_barrier
	buffer_gl0_inv
	ds_store_b128 v168, v[43:46]
	ds_store_b128 v168, v[55:58] offset:624
	ds_store_b128 v168, v[47:50] offset:208
	;; [unrolled: 1-line block ×5, first 2 shown]
	v_add_f64 v[43:44], v[0:1], v[4:5]
	v_add_f64 v[55:56], v[10:11], -v[16:17]
	v_add_f64 v[59:60], v[18:19], -v[26:27]
	;; [unrolled: 1-line block ×3, first 2 shown]
	v_add_f64 v[51:52], v[116:117], v[0:1]
	v_fma_f64 v[47:48], v[43:44], -0.5, v[116:117]
	v_add_f64 v[43:44], v[2:3], v[8:9]
	s_delay_alu instid0(VALU_DEP_1) | instskip(SKIP_2) | instid1(VALU_DEP_2)
	v_fma_f64 v[49:50], v[43:44], -0.5, v[118:119]
	v_add_f64 v[43:44], v[118:119], v[2:3]
	v_add_f64 v[2:3], v[2:3], -v[8:9]
	v_add_f64 v[45:46], v[43:44], v[8:9]
	v_add_f64 v[43:44], v[51:52], v[4:5]
	v_add_f64 v[4:5], v[0:1], -v[4:5]
	s_delay_alu instid0(VALU_DEP_4) | instskip(SKIP_2) | instid1(VALU_DEP_4)
	v_fma_f64 v[0:1], v[2:3], s[2:3], v[47:48]
	v_fma_f64 v[47:48], v[2:3], s[8:9], v[47:48]
	v_add_f64 v[8:9], v[120:121], v[6:7]
	v_fma_f64 v[2:3], v[4:5], s[8:9], v[49:50]
	v_fma_f64 v[49:50], v[4:5], s[2:3], v[49:50]
	v_add_f64 v[4:5], v[6:7], v[12:13]
	s_delay_alu instid0(VALU_DEP_4) | instskip(SKIP_1) | instid1(VALU_DEP_3)
	v_add_f64 v[8:9], v[8:9], v[12:13]
	v_add_f64 v[12:13], v[6:7], -v[12:13]
	v_fma_f64 v[51:52], v[4:5], -0.5, v[120:121]
	v_add_f64 v[4:5], v[10:11], v[16:17]
	s_delay_alu instid0(VALU_DEP_1) | instskip(SKIP_1) | instid1(VALU_DEP_2)
	v_fma_f64 v[53:54], v[4:5], -0.5, v[122:123]
	v_add_f64 v[4:5], v[122:123], v[10:11]
	v_fma_f64 v[6:7], v[12:13], s[8:9], v[53:54]
	v_fma_f64 v[53:54], v[12:13], s[2:3], v[53:54]
	v_add_f64 v[12:13], v[14:15], v[22:23]
	s_delay_alu instid0(VALU_DEP_4)
	v_add_f64 v[10:11], v[4:5], v[16:17]
	v_fma_f64 v[4:5], v[55:56], s[2:3], v[51:52]
	v_fma_f64 v[51:52], v[55:56], s[8:9], v[51:52]
	v_add_f64 v[16:17], v[124:125], v[14:15]
	v_fma_f64 v[55:56], v[12:13], -0.5, v[124:125]
	v_add_f64 v[12:13], v[18:19], v[26:27]
	s_delay_alu instid0(VALU_DEP_3) | instskip(SKIP_1) | instid1(VALU_DEP_3)
	v_add_f64 v[16:17], v[16:17], v[22:23]
	v_add_f64 v[22:23], v[14:15], -v[22:23]
	v_fma_f64 v[57:58], v[12:13], -0.5, v[126:127]
	v_add_f64 v[12:13], v[126:127], v[18:19]
	s_delay_alu instid0(VALU_DEP_2) | instskip(SKIP_2) | instid1(VALU_DEP_4)
	v_fma_f64 v[14:15], v[22:23], s[8:9], v[57:58]
	v_fma_f64 v[57:58], v[22:23], s[2:3], v[57:58]
	v_add_f64 v[22:23], v[24:25], v[30:31]
	v_add_f64 v[18:19], v[12:13], v[26:27]
	v_fma_f64 v[12:13], v[59:60], s[2:3], v[55:56]
	v_fma_f64 v[55:56], v[59:60], s[8:9], v[55:56]
	v_add_f64 v[26:27], v[132:133], v[24:25]
	v_fma_f64 v[59:60], v[22:23], -0.5, v[132:133]
	v_add_f64 v[22:23], v[28:29], v[34:35]
	s_delay_alu instid0(VALU_DEP_3) | instskip(SKIP_1) | instid1(VALU_DEP_3)
	v_add_f64 v[26:27], v[26:27], v[30:31]
	v_add_f64 v[30:31], v[24:25], -v[30:31]
	v_fma_f64 v[61:62], v[22:23], -0.5, v[134:135]
	v_add_f64 v[22:23], v[134:135], v[28:29]
	s_delay_alu instid0(VALU_DEP_2) | instskip(SKIP_2) | instid1(VALU_DEP_4)
	v_fma_f64 v[24:25], v[30:31], s[8:9], v[61:62]
	v_fma_f64 v[61:62], v[30:31], s[2:3], v[61:62]
	v_add_f64 v[30:31], v[32:33], v[80:81]
	v_add_f64 v[28:29], v[22:23], v[34:35]
	v_fma_f64 v[22:23], v[63:64], s[2:3], v[59:60]
	v_fma_f64 v[59:60], v[63:64], s[8:9], v[59:60]
	v_add_f64 v[34:35], v[67:68], v[32:33]
	v_fma_f64 v[63:64], v[30:31], -0.5, v[67:68]
	v_add_f64 v[30:31], v[36:37], v[82:83]
	v_add_f64 v[67:68], v[36:37], -v[82:83]
	s_delay_alu instid0(VALU_DEP_4) | instskip(NEXT) | instid1(VALU_DEP_3)
	v_add_f64 v[34:35], v[34:35], v[80:81]
	v_fma_f64 v[65:66], v[30:31], -0.5, v[69:70]
	v_add_f64 v[30:31], v[69:70], v[36:37]
	v_add_f64 v[69:70], v[32:33], -v[80:81]
	s_delay_alu instid0(VALU_DEP_2)
	v_add_f64 v[36:37], v[30:31], v[82:83]
	v_fma_f64 v[30:31], v[67:68], s[2:3], v[63:64]
	v_fma_f64 v[63:64], v[67:68], s[8:9], v[63:64]
	v_lshl_add_u32 v67, v38, 4, v164
	v_and_b32_e32 v38, 0xff, v39
	v_fma_f64 v[32:33], v[69:70], s[8:9], v[65:66]
	v_fma_f64 v[65:66], v[69:70], s[2:3], v[65:66]
	s_mov_b32 s8, 0xe976ee23
	s_mov_b32 s9, 0xbfe11646
	v_lshl_add_u32 v38, v38, 4, v164
	ds_store_b128 v67, v[43:46] offset:1248
	s_mov_b32 s2, 0x429ad128
	s_mov_b32 s3, 0x3febfeb5
	ds_store_b128 v38, v[8:11] offset:1872
	v_and_b32_e32 v8, 0xff, v40
	s_delay_alu instid0(VALU_DEP_1) | instskip(SKIP_1) | instid1(VALU_DEP_1)
	v_lshl_add_u32 v9, v8, 4, v164
	v_and_b32_e32 v8, 0xff, v41
	v_lshl_add_u32 v21, v8, 4, v164
	v_and_b32_e32 v8, 0xff, v42
	ds_store_b128 v9, v[16:19] offset:2496
	ds_store_b128 v21, v[26:29] offset:3120
	v_lshl_add_u32 v20, v8, 4, v164
	ds_store_b128 v20, v[34:37] offset:3744
	ds_store_b128 v67, v[0:3] offset:1456
	scratch_store_b32 off, v67, off offset:480 ; 4-byte Folded Spill
	ds_store_b128 v67, v[47:50] offset:1664
	ds_store_b128 v38, v[4:7] offset:2080
	v_mad_u64_u32 v[4:5], null, 0x60, v84, s[0:1]
	scratch_store_b32 off, v38, off offset:472 ; 4-byte Folded Spill
	ds_store_b128 v38, v[51:54] offset:2288
	ds_store_b128 v9, v[12:15] offset:2704
	scratch_store_b32 off, v9, off offset:464 ; 4-byte Folded Spill
	ds_store_b128 v9, v[55:58] offset:2912
	ds_store_b128 v21, v[22:25] offset:3328
	;; [unrolled: 1-line block ×5, first 2 shown]
	s_waitcnt lgkmcnt(0)
	s_waitcnt_vscnt null, 0x0
	s_barrier
	buffer_gl0_inv
	s_clause 0x3
	global_load_b128 v[116:119], v[4:5], off offset:416
	global_load_b128 v[144:147], v[4:5], off offset:432
	;; [unrolled: 1-line block ×4, first 2 shown]
	ds_load_b128 v[0:3], v168 offset:624
	s_clause 0xd
	global_load_b128 v[152:155], v[4:5], off offset:1664
	global_load_b128 v[160:163], v[4:5], off offset:1680
	;; [unrolled: 1-line block ×14, first 2 shown]
	s_mov_b32 s0, 0x36b3c0b5
	s_mov_b32 s1, 0x3fac98ee
	s_waitcnt vmcnt(17) lgkmcnt(0)
	v_mul_f64 v[6:7], v[2:3], v[118:119]
	s_delay_alu instid0(VALU_DEP_1) | instskip(SKIP_1) | instid1(VALU_DEP_1)
	v_fma_f64 v[60:61], v[0:1], v[116:117], -v[6:7]
	v_mul_f64 v[0:1], v[0:1], v[118:119]
	v_fma_f64 v[62:63], v[2:3], v[116:117], v[0:1]
	ds_load_b128 v[0:3], v168 offset:1248
	s_waitcnt vmcnt(16) lgkmcnt(0)
	v_mul_f64 v[6:7], v[2:3], v[146:147]
	s_delay_alu instid0(VALU_DEP_1) | instskip(SKIP_1) | instid1(VALU_DEP_1)
	v_fma_f64 v[80:81], v[0:1], v[144:145], -v[6:7]
	v_mul_f64 v[0:1], v[0:1], v[146:147]
	v_fma_f64 v[82:83], v[2:3], v[144:145], v[0:1]
	ds_load_b128 v[0:3], v168 offset:3120
	s_waitcnt vmcnt(15) lgkmcnt(0)
	v_mul_f64 v[6:7], v[2:3], v[142:143]
	s_delay_alu instid0(VALU_DEP_1) | instskip(SKIP_1) | instid1(VALU_DEP_2)
	v_fma_f64 v[84:85], v[0:1], v[140:141], -v[6:7]
	v_mul_f64 v[0:1], v[0:1], v[142:143]
	v_add_f64 v[196:197], v[80:81], v[84:85]
	s_delay_alu instid0(VALU_DEP_2) | instskip(SKIP_4) | instid1(VALU_DEP_2)
	v_fma_f64 v[86:87], v[2:3], v[140:141], v[0:1]
	ds_load_b128 v[0:3], v168 offset:3744
	s_waitcnt vmcnt(14) lgkmcnt(0)
	v_mul_f64 v[6:7], v[2:3], v[150:151]
	v_add_f64 v[204:205], v[82:83], v[86:87]
	v_fma_f64 v[88:89], v[0:1], v[148:149], -v[6:7]
	v_mul_f64 v[0:1], v[0:1], v[150:151]
	s_delay_alu instid0(VALU_DEP_2) | instskip(NEXT) | instid1(VALU_DEP_2)
	v_add_f64 v[58:59], v[60:61], v[88:89]
	v_fma_f64 v[90:91], v[2:3], v[148:149], v[0:1]
	ds_load_b128 v[0:3], v168 offset:832
	s_waitcnt vmcnt(13) lgkmcnt(0)
	v_mul_f64 v[6:7], v[2:3], v[154:155]
	v_add_f64 v[202:203], v[62:63], v[90:91]
	s_delay_alu instid0(VALU_DEP_2) | instskip(SKIP_1) | instid1(VALU_DEP_1)
	v_fma_f64 v[26:27], v[0:1], v[152:153], -v[6:7]
	v_mul_f64 v[0:1], v[0:1], v[154:155]
	v_fma_f64 v[28:29], v[2:3], v[152:153], v[0:1]
	ds_load_b128 v[0:3], v168 offset:1456
	s_waitcnt vmcnt(12) lgkmcnt(0)
	v_mul_f64 v[6:7], v[2:3], v[162:163]
	s_delay_alu instid0(VALU_DEP_1) | instskip(SKIP_1) | instid1(VALU_DEP_1)
	v_fma_f64 v[34:35], v[0:1], v[160:161], -v[6:7]
	v_mul_f64 v[0:1], v[0:1], v[162:163]
	v_fma_f64 v[36:37], v[2:3], v[160:161], v[0:1]
	ds_load_b128 v[0:3], v168 offset:3328
	s_waitcnt vmcnt(11) lgkmcnt(0)
	v_mul_f64 v[6:7], v[2:3], v[158:159]
	s_delay_alu instid0(VALU_DEP_1) | instskip(SKIP_1) | instid1(VALU_DEP_2)
	v_fma_f64 v[42:43], v[0:1], v[156:157], -v[6:7]
	v_mul_f64 v[0:1], v[0:1], v[158:159]
	v_add_f64 v[212:213], v[34:35], v[42:43]
	s_delay_alu instid0(VALU_DEP_2)
	v_fma_f64 v[44:45], v[2:3], v[156:157], v[0:1]
	ds_load_b128 v[0:3], v168 offset:3952
	v_add_f64 v[34:35], v[34:35], -v[42:43]
	s_waitcnt vmcnt(10) lgkmcnt(0)
	v_mul_f64 v[6:7], v[2:3], v[190:191]
	v_add_f64 v[220:221], v[36:37], v[44:45]
	v_add_f64 v[36:37], v[36:37], -v[44:45]
	s_delay_alu instid0(VALU_DEP_3) | instskip(SKIP_1) | instid1(VALU_DEP_2)
	v_fma_f64 v[46:47], v[0:1], v[188:189], -v[6:7]
	v_mul_f64 v[0:1], v[0:1], v[190:191]
	v_add_f64 v[210:211], v[26:27], v[46:47]
	s_delay_alu instid0(VALU_DEP_2)
	v_fma_f64 v[48:49], v[2:3], v[188:189], v[0:1]
	ds_load_b128 v[0:3], v168 offset:1040
	v_add_f64 v[44:45], v[26:27], -v[46:47]
	s_waitcnt vmcnt(9) lgkmcnt(0)
	v_mul_f64 v[6:7], v[2:3], v[166:167]
	v_add_f64 v[218:219], v[28:29], v[48:49]
	v_add_f64 v[48:49], v[28:29], -v[48:49]
	s_delay_alu instid0(VALU_DEP_3) | instskip(SKIP_1) | instid1(VALU_DEP_1)
	v_fma_f64 v[8:9], v[0:1], v[164:165], -v[6:7]
	v_mul_f64 v[0:1], v[0:1], v[166:167]
	v_fma_f64 v[10:11], v[2:3], v[164:165], v[0:1]
	ds_load_b128 v[0:3], v168 offset:1664
	s_waitcnt vmcnt(8) lgkmcnt(0)
	v_mul_f64 v[6:7], v[2:3], v[70:71]
	s_delay_alu instid0(VALU_DEP_1) | instskip(SKIP_1) | instid1(VALU_DEP_1)
	v_fma_f64 v[12:13], v[0:1], v[68:69], -v[6:7]
	v_mul_f64 v[0:1], v[0:1], v[70:71]
	v_fma_f64 v[14:15], v[2:3], v[68:69], v[0:1]
	ds_load_b128 v[0:3], v168 offset:4160
	s_waitcnt vmcnt(7) lgkmcnt(0)
	v_mul_f64 v[6:7], v[2:3], v[174:175]
	s_delay_alu instid0(VALU_DEP_1) | instskip(SKIP_1) | instid1(VALU_DEP_2)
	v_fma_f64 v[16:17], v[0:1], v[172:173], -v[6:7]
	v_mul_f64 v[0:1], v[0:1], v[174:175]
	v_add_f64 v[242:243], v[8:9], v[16:17]
	s_delay_alu instid0(VALU_DEP_2)
	v_fma_f64 v[18:19], v[2:3], v[172:173], v[0:1]
	ds_load_b128 v[0:3], v168 offset:3536
	v_add_f64 v[8:9], v[8:9], -v[16:17]
	s_waitcnt vmcnt(6) lgkmcnt(0)
	v_mul_f64 v[6:7], v[2:3], v[178:179]
	v_add_f64 v[250:251], v[10:11], v[18:19]
	v_add_f64 v[10:11], v[10:11], -v[18:19]
	s_delay_alu instid0(VALU_DEP_3) | instskip(SKIP_1) | instid1(VALU_DEP_2)
	v_fma_f64 v[22:23], v[0:1], v[176:177], -v[6:7]
	v_mul_f64 v[0:1], v[0:1], v[178:179]
	v_add_f64 v[244:245], v[12:13], v[22:23]
	s_delay_alu instid0(VALU_DEP_2)
	v_fma_f64 v[24:25], v[2:3], v[176:177], v[0:1]
	ds_load_b128 v[0:3], v168 offset:1872
	v_add_f64 v[12:13], v[12:13], -v[22:23]
	s_waitcnt vmcnt(5) lgkmcnt(0)
	v_mul_f64 v[6:7], v[2:3], v[182:183]
	v_add_f64 v[64:65], v[244:245], v[242:243]
	v_add_f64 v[252:253], v[14:15], v[24:25]
	v_add_f64 v[14:15], v[14:15], -v[24:25]
	v_add_f64 v[18:19], v[244:245], -v[242:243]
	v_fma_f64 v[92:93], v[0:1], v[180:181], -v[6:7]
	v_mul_f64 v[0:1], v[0:1], v[182:183]
	s_delay_alu instid0(VALU_DEP_1) | instskip(SKIP_3) | instid1(VALU_DEP_1)
	v_fma_f64 v[94:95], v[2:3], v[180:181], v[0:1]
	ds_load_b128 v[0:3], v168 offset:2496
	s_waitcnt vmcnt(4) lgkmcnt(0)
	v_mul_f64 v[6:7], v[2:3], v[186:187]
	v_fma_f64 v[96:97], v[0:1], v[184:185], -v[6:7]
	v_mul_f64 v[0:1], v[0:1], v[186:187]
	s_delay_alu instid0(VALU_DEP_2) | instskip(NEXT) | instid1(VALU_DEP_2)
	v_add_f64 v[198:199], v[92:93], v[96:97]
	v_fma_f64 v[98:99], v[2:3], v[184:185], v[0:1]
	ds_load_b128 v[0:3], v168 offset:2080
	s_waitcnt vmcnt(3) lgkmcnt(0)
	v_mul_f64 v[6:7], v[2:3], v[134:135]
	v_add_f64 v[206:207], v[94:95], v[98:99]
	s_delay_alu instid0(VALU_DEP_2) | instskip(SKIP_1) | instid1(VALU_DEP_1)
	v_fma_f64 v[52:53], v[0:1], v[132:133], -v[6:7]
	v_mul_f64 v[0:1], v[0:1], v[134:135]
	v_fma_f64 v[50:51], v[2:3], v[132:133], v[0:1]
	ds_load_b128 v[0:3], v168 offset:2704
	s_waitcnt vmcnt(2) lgkmcnt(0)
	v_mul_f64 v[6:7], v[2:3], v[138:139]
	s_delay_alu instid0(VALU_DEP_1) | instskip(SKIP_1) | instid1(VALU_DEP_2)
	v_fma_f64 v[56:57], v[0:1], v[136:137], -v[6:7]
	v_mul_f64 v[0:1], v[0:1], v[138:139]
	v_add_f64 v[214:215], v[52:53], v[56:57]
	s_delay_alu instid0(VALU_DEP_2)
	v_fma_f64 v[54:55], v[2:3], v[136:137], v[0:1]
	ds_load_b128 v[0:3], v168 offset:2288
	v_add_f64 v[42:43], v[56:57], -v[52:53]
	s_waitcnt vmcnt(1) lgkmcnt(0)
	v_mul_f64 v[6:7], v[2:3], v[122:123]
	v_add_f64 v[52:53], v[214:215], -v[212:213]
	v_add_f64 v[222:223], v[50:51], v[54:55]
	v_add_f64 v[46:47], v[54:55], -v[50:51]
	v_add_f64 v[28:29], v[42:43], -v[34:35]
	v_add_f64 v[26:27], v[42:43], v[34:35]
	v_add_f64 v[50:51], v[212:213], -v[210:211]
	v_add_f64 v[54:55], v[220:221], -v[218:219]
	v_fma_f64 v[32:33], v[0:1], v[120:121], -v[6:7]
	v_mul_f64 v[0:1], v[0:1], v[122:123]
	v_add_f64 v[56:57], v[222:223], -v[220:221]
	s_delay_alu instid0(VALU_DEP_2) | instskip(SKIP_3) | instid1(VALU_DEP_1)
	v_fma_f64 v[30:31], v[2:3], v[120:121], v[0:1]
	ds_load_b128 v[0:3], v168 offset:2912
	s_waitcnt vmcnt(0) lgkmcnt(0)
	v_mul_f64 v[4:5], v[2:3], v[126:127]
	v_fma_f64 v[40:41], v[0:1], v[124:125], -v[4:5]
	v_mul_f64 v[0:1], v[0:1], v[126:127]
	v_add_f64 v[4:5], v[212:213], v[210:211]
	s_delay_alu instid0(VALU_DEP_3) | instskip(NEXT) | instid1(VALU_DEP_3)
	v_add_f64 v[246:247], v[32:33], v[40:41]
	v_fma_f64 v[38:39], v[2:3], v[124:125], v[0:1]
	v_add_f64 v[0:1], v[196:197], v[58:59]
	s_delay_alu instid0(VALU_DEP_4)
	v_add_f64 v[216:217], v[214:215], v[4:5]
	v_add_f64 v[4:5], v[220:221], v[218:219]
	v_add_f64 v[22:23], v[40:41], -v[32:33]
	v_add_f64 v[248:249], v[246:247], v[64:65]
	v_add_f64 v[254:255], v[30:31], v[38:39]
	;; [unrolled: 1-line block ×6, first 2 shown]
	ds_load_b128 v[4:7], v168 offset:208
	v_add_f64 v[40:41], v[22:23], -v[12:13]
	v_add_f64 v[16:17], v[38:39], -v[30:31]
	v_add_f64 v[30:31], v[252:253], -v[250:251]
	v_add_f64 v[38:39], v[22:23], v[12:13]
	v_add_f64 v[12:13], v[12:13], -v[8:9]
	v_add_f64 v[24:25], v[246:247], -v[244:245]
	s_waitcnt lgkmcnt(0)
	v_add_f64 v[4:5], v[4:5], v[216:217]
	v_add_f64 v[32:33], v[254:255], -v[252:253]
	v_add_f64 v[170:171], v[254:255], v[64:65]
	ds_load_b128 v[64:67], v168 offset:416
	v_add_f64 v[208:209], v[206:207], v[0:1]
	ds_load_b128 v[0:3], v168
	v_add_f64 v[6:7], v[6:7], v[240:241]
	v_mul_f64 v[40:41], v[40:41], s[8:9]
	v_add_f64 v[38:39], v[38:39], v[8:9]
	v_add_f64 v[8:9], v[8:9], -v[22:23]
	s_waitcnt lgkmcnt(1)
	v_add_f64 v[192:193], v[64:65], v[248:249]
	v_add_f64 v[64:65], v[80:81], -v[84:85]
	v_add_f64 v[80:81], v[96:97], -v[92:93]
	;; [unrolled: 1-line block ×5, first 2 shown]
	s_waitcnt lgkmcnt(0)
	v_add_f64 v[0:1], v[0:1], v[200:201]
	v_add_f64 v[194:195], v[66:67], v[170:171]
	v_add_f64 v[66:67], v[82:83], -v[86:87]
	v_add_f64 v[82:83], v[60:61], -v[88:89]
	;; [unrolled: 1-line block ×7, first 2 shown]
	v_add_f64 v[2:3], v[2:3], v[208:209]
	v_add_f64 v[62:63], v[80:81], -v[64:65]
	v_add_f64 v[60:61], v[80:81], v[64:65]
	v_fma_f64 v[200:201], v[200:201], s[16:17], v[0:1]
	v_add_f64 v[98:99], v[84:85], -v[66:67]
	v_add_f64 v[96:97], v[64:65], -v[82:83]
	v_add_f64 v[64:65], v[84:85], v[66:67]
	v_add_f64 v[80:81], v[82:83], -v[80:81]
	v_add_f64 v[196:197], v[66:67], -v[86:87]
	v_mul_f64 v[58:59], v[58:59], s[20:21]
	v_fma_f64 v[208:209], v[208:209], s[16:17], v[2:3]
	v_mul_f64 v[234:235], v[62:63], s[8:9]
	v_add_f64 v[204:205], v[60:61], v[82:83]
	v_mul_f64 v[62:63], v[94:95], s[0:1]
	v_add_f64 v[82:83], v[86:87], -v[84:85]
	v_mul_f64 v[60:61], v[88:89], s[0:1]
	v_mul_f64 v[98:99], v[98:99], s[8:9]
	;; [unrolled: 1-line block ×3, first 2 shown]
	v_add_f64 v[232:233], v[64:65], v[86:87]
	v_mul_f64 v[86:87], v[196:197], s[2:3]
	v_fma_f64 v[64:65], v[96:97], s[2:3], -v[234:235]
	v_mul_f64 v[96:97], v[198:199], s[20:21]
	v_fma_f64 v[62:63], v[92:93], s[12:13], -v[62:63]
	v_fma_f64 v[60:61], v[90:91], s[12:13], -v[60:61]
	;; [unrolled: 1-line block ×3, first 2 shown]
	v_fma_f64 v[58:59], v[88:89], s[0:1], v[58:59]
	v_mul_f64 v[88:89], v[28:29], s[8:9]
	v_mul_f64 v[28:29], v[56:57], s[0:1]
	v_fma_f64 v[84:85], v[80:81], s[24:25], -v[84:85]
	v_fma_f64 v[80:81], v[80:81], s[18:19], v[234:235]
	v_fma_f64 v[86:87], v[82:83], s[24:25], -v[86:87]
	v_fma_f64 v[82:83], v[82:83], s[18:19], v[98:99]
	v_fma_f64 v[66:67], v[204:205], s[14:15], v[64:65]
	v_fma_f64 v[92:93], v[92:93], s[22:23], -v[96:97]
	v_add_f64 v[226:227], v[62:63], v[208:209]
	v_fma_f64 v[64:65], v[196:197], s[2:3], -v[98:99]
	v_add_f64 v[224:225], v[60:61], v[200:201]
	v_add_f64 v[90:91], v[90:91], v[200:201]
	;; [unrolled: 1-line block ×3, first 2 shown]
	v_add_f64 v[98:99], v[44:45], -v[42:43]
	v_fma_f64 v[28:29], v[54:55], s[12:13], -v[28:29]
	v_add_f64 v[196:197], v[48:49], -v[46:47]
	v_fma_f64 v[84:85], v[204:205], s[14:15], v[84:85]
	v_fma_f64 v[80:81], v[204:205], s[14:15], v[80:81]
	;; [unrolled: 1-line block ×4, first 2 shown]
	v_add_f64 v[92:93], v[92:93], v[208:209]
	v_add_f64 v[62:63], v[66:67], v[226:227]
	v_add_f64 v[66:67], v[226:227], -v[66:67]
	v_fma_f64 v[64:65], v[232:233], s[14:15], v[64:65]
	v_add_f64 v[228:229], v[90:91], -v[86:87]
	v_add_f64 v[232:233], v[82:83], v[58:59]
	v_add_f64 v[236:237], v[58:59], -v[82:83]
	v_add_f64 v[58:59], v[34:35], -v[44:45]
	v_add_f64 v[34:35], v[46:47], v[36:37]
	v_add_f64 v[82:83], v[36:37], -v[48:49]
	v_add_f64 v[226:227], v[92:93], -v[84:85]
	v_add_f64 v[230:231], v[84:85], v[92:93]
	v_fma_f64 v[84:85], v[94:95], s[0:1], v[96:97]
	v_add_f64 v[60:61], v[224:225], -v[64:65]
	v_add_f64 v[64:65], v[64:65], v[224:225]
	v_add_f64 v[224:225], v[86:87], v[90:91]
	v_fma_f64 v[90:91], v[216:217], s[16:17], v[4:5]
	v_fma_f64 v[92:93], v[240:241], s[16:17], v[6:7]
	v_mul_f64 v[42:43], v[58:59], s[2:3]
	v_add_f64 v[86:87], v[34:35], v[48:49]
	v_fma_f64 v[34:35], v[58:59], s[2:3], -v[88:89]
	v_add_f64 v[84:85], v[84:85], v[208:209]
	v_add_f64 v[96:97], v[28:29], v[92:93]
	v_fma_f64 v[42:43], v[98:99], s[24:25], -v[42:43]
	s_delay_alu instid0(VALU_DEP_3)
	v_add_f64 v[234:235], v[84:85], -v[80:81]
	v_add_f64 v[238:239], v[80:81], v[84:85]
	v_add_f64 v[80:81], v[46:47], -v[36:37]
	v_add_f64 v[84:85], v[26:27], v[44:45]
	v_mul_f64 v[26:27], v[52:53], s[0:1]
	v_mul_f64 v[44:45], v[82:83], s[2:3]
	s_delay_alu instid0(VALU_DEP_4) | instskip(NEXT) | instid1(VALU_DEP_4)
	v_mul_f64 v[80:81], v[80:81], s[8:9]
	v_fma_f64 v[36:37], v[84:85], s[14:15], v[34:35]
	s_delay_alu instid0(VALU_DEP_4) | instskip(NEXT) | instid1(VALU_DEP_4)
	v_fma_f64 v[26:27], v[50:51], s[12:13], -v[26:27]
	v_fma_f64 v[44:45], v[196:197], s[24:25], -v[44:45]
	s_delay_alu instid0(VALU_DEP_4) | instskip(NEXT) | instid1(VALU_DEP_4)
	v_fma_f64 v[34:35], v[82:83], s[2:3], -v[80:81]
	v_add_f64 v[28:29], v[36:37], v[96:97]
	s_delay_alu instid0(VALU_DEP_4) | instskip(SKIP_3) | instid1(VALU_DEP_2)
	v_add_f64 v[94:95], v[26:27], v[90:91]
	v_add_f64 v[36:37], v[96:97], -v[36:37]
	v_add_f64 v[96:97], v[218:219], -v[222:223]
	v_fma_f64 v[34:35], v[86:87], s[14:15], v[34:35]
	v_mul_f64 v[82:83], v[96:97], s[20:21]
	s_delay_alu instid0(VALU_DEP_2) | instskip(SKIP_2) | instid1(VALU_DEP_4)
	v_add_f64 v[26:27], v[94:95], -v[34:35]
	v_add_f64 v[34:35], v[34:35], v[94:95]
	v_add_f64 v[94:95], v[210:211], -v[214:215]
	v_fma_f64 v[48:49], v[54:55], s[22:23], -v[82:83]
	v_fma_f64 v[54:55], v[86:87], s[14:15], v[44:45]
	v_fma_f64 v[56:57], v[56:57], s[0:1], v[82:83]
	;; [unrolled: 1-line block ×3, first 2 shown]
	v_mul_f64 v[58:59], v[94:95], s[20:21]
	v_add_f64 v[48:49], v[48:49], v[92:93]
	s_delay_alu instid0(VALU_DEP_4) | instskip(NEXT) | instid1(VALU_DEP_3)
	v_add_f64 v[56:57], v[56:57], v[92:93]
	v_fma_f64 v[46:47], v[50:51], s[22:23], -v[58:59]
	v_fma_f64 v[50:51], v[84:85], s[14:15], v[42:43]
	v_fma_f64 v[52:53], v[52:53], s[0:1], v[58:59]
	s_delay_alu instid0(VALU_DEP_3) | instskip(NEXT) | instid1(VALU_DEP_3)
	v_add_f64 v[46:47], v[46:47], v[90:91]
	v_add_f64 v[44:45], v[48:49], -v[50:51]
	v_add_f64 v[48:49], v[50:51], v[48:49]
	v_fma_f64 v[50:51], v[98:99], s[18:19], v[88:89]
	s_delay_alu instid0(VALU_DEP_4)
	v_add_f64 v[42:43], v[54:55], v[46:47]
	v_add_f64 v[46:47], v[46:47], -v[54:55]
	v_fma_f64 v[54:55], v[196:197], s[18:19], v[80:81]
	v_add_f64 v[80:81], v[52:53], v[90:91]
	v_fma_f64 v[58:59], v[84:85], s[14:15], v[50:51]
	v_fma_f64 v[84:85], v[170:171], s[16:17], v[194:195]
	s_delay_alu instid0(VALU_DEP_4) | instskip(SKIP_1) | instid1(VALU_DEP_4)
	v_fma_f64 v[54:55], v[86:87], s[14:15], v[54:55]
	v_fma_f64 v[86:87], v[12:13], s[2:3], -v[40:41]
	v_add_f64 v[52:53], v[56:57], -v[58:59]
	v_add_f64 v[198:199], v[58:59], v[56:57]
	v_add_f64 v[56:57], v[16:17], -v[14:15]
	v_mul_f64 v[58:59], v[24:25], s[0:1]
	v_mul_f64 v[12:13], v[12:13], s[2:3]
	v_add_f64 v[50:51], v[54:55], v[80:81]
	v_add_f64 v[196:197], v[80:81], -v[54:55]
	v_mul_f64 v[80:81], v[32:33], s[0:1]
	v_add_f64 v[54:55], v[16:17], v[14:15]
	v_add_f64 v[14:15], v[14:15], -v[10:11]
	v_mul_f64 v[56:57], v[56:57], s[8:9]
	v_fma_f64 v[86:87], v[38:39], s[14:15], v[86:87]
	v_fma_f64 v[58:59], v[18:19], s[12:13], -v[58:59]
	v_fma_f64 v[12:13], v[8:9], s[24:25], -v[12:13]
	ds_store_b128 v168, v[0:3]
	ds_store_b128 v168, v[4:7] offset:208
	ds_store_b128 v168, v[224:227] offset:1248
	ds_store_b128 v168, v[50:53] offset:832
	ds_store_b128 v168, v[60:63] offset:1872
	ds_store_b128 v168, v[42:45] offset:1456
	ds_store_b128 v168, v[64:67] offset:2496
	ds_store_b128 v168, v[26:29] offset:2080
	ds_store_b128 v168, v[228:231] offset:3120
	ds_store_b128 v168, v[34:37] offset:2704
	ds_store_b128 v168, v[236:239] offset:3744
	ds_store_b128 v168, v[46:49] offset:3328
	ds_store_b128 v168, v[232:235] offset:624
	s_clause 0x1
	scratch_load_b32 v0, off, off offset:488
	scratch_load_b32 v1, off, off offset:496
	v_fma_f64 v[8:9], v[8:9], s[18:19], v[40:41]
	v_fma_f64 v[80:81], v[30:31], s[12:13], -v[80:81]
	v_add_f64 v[54:55], v[54:55], v[10:11]
	v_add_f64 v[10:11], v[10:11], -v[16:17]
	v_fma_f64 v[88:89], v[14:15], s[2:3], -v[56:57]
	v_mul_f64 v[14:15], v[14:15], s[2:3]
	v_add_f64 v[58:59], v[58:59], v[82:83]
	v_fma_f64 v[12:13], v[38:39], s[14:15], v[12:13]
	v_fma_f64 v[8:9], v[38:39], s[14:15], v[8:9]
	v_add_f64 v[80:81], v[80:81], v[84:85]
	v_fma_f64 v[88:89], v[54:55], s[14:15], v[88:89]
	v_fma_f64 v[14:15], v[10:11], s[24:25], -v[14:15]
	v_fma_f64 v[10:11], v[10:11], s[18:19], v[56:57]
	s_delay_alu instid0(VALU_DEP_4)
	v_add_f64 v[210:211], v[86:87], v[80:81]
	v_add_f64 v[214:215], v[80:81], -v[86:87]
	v_add_f64 v[80:81], v[250:251], -v[254:255]
	;; [unrolled: 1-line block ×3, first 2 shown]
	v_add_f64 v[212:213], v[88:89], v[58:59]
	v_add_f64 v[58:59], v[242:243], -v[246:247]
	v_fma_f64 v[10:11], v[54:55], s[14:15], v[10:11]
	v_fma_f64 v[14:15], v[54:55], s[14:15], v[14:15]
	v_mul_f64 v[22:23], v[80:81], s[20:21]
	s_delay_alu instid0(VALU_DEP_4) | instskip(NEXT) | instid1(VALU_DEP_2)
	v_mul_f64 v[16:17], v[58:59], s[20:21]
	v_fma_f64 v[30:31], v[30:31], s[22:23], -v[22:23]
	s_delay_alu instid0(VALU_DEP_2) | instskip(NEXT) | instid1(VALU_DEP_2)
	v_fma_f64 v[18:19], v[18:19], s[22:23], -v[16:17]
	v_add_f64 v[30:31], v[30:31], v[84:85]
	s_delay_alu instid0(VALU_DEP_2) | instskip(NEXT) | instid1(VALU_DEP_2)
	v_add_f64 v[18:19], v[18:19], v[82:83]
	v_add_f64 v[206:207], v[30:31], -v[12:13]
	v_add_f64 v[222:223], v[12:13], v[30:31]
	v_fma_f64 v[12:13], v[24:25], s[0:1], v[16:17]
	s_delay_alu instid0(VALU_DEP_4) | instskip(SKIP_2) | instid1(VALU_DEP_4)
	v_add_f64 v[204:205], v[14:15], v[18:19]
	v_add_f64 v[220:221], v[18:19], -v[14:15]
	v_fma_f64 v[14:15], v[32:33], s[0:1], v[22:23]
	v_add_f64 v[12:13], v[12:13], v[82:83]
	s_delay_alu instid0(VALU_DEP_2) | instskip(NEXT) | instid1(VALU_DEP_2)
	v_add_f64 v[14:15], v[14:15], v[84:85]
	v_add_f64 v[200:201], v[10:11], v[12:13]
	v_add_f64 v[216:217], v[12:13], -v[10:11]
	scratch_load_b64 v[12:13], off, off offset:4 ; 8-byte Folded Reload
	v_add_f64 v[202:203], v[14:15], -v[8:9]
	v_add_f64 v[218:219], v[8:9], v[14:15]
	s_waitcnt vmcnt(1)
	v_lshl_add_u32 v171, v1, 4, v0
	ds_store_b128 v168, v[192:195] offset:416
	ds_store_b128 v168, v[196:199] offset:3952
	;; [unrolled: 1-line block ×8, first 2 shown]
	s_waitcnt vmcnt(0) lgkmcnt(0)
	s_barrier
	buffer_gl0_inv
	ds_load_b128 v[4:7], v168
	ds_load_b128 v[26:29], v168 offset:1008
	ds_load_b128 v[44:47], v168 offset:2016
	;; [unrolled: 1-line block ×10, first 2 shown]
	v_add_co_u32 v0, s0, 0x1000, v12
	s_delay_alu instid0(VALU_DEP_1)
	v_add_co_ci_u32_e64 v1, s0, 0, v13, s0
	scratch_store_b64 off, v[0:1], off offset:488 ; 8-byte Folded Spill
	global_load_b128 v[0:3], v[0:1], off offset:272
	s_waitcnt vmcnt(0) lgkmcnt(10)
	v_mul_f64 v[8:9], v[6:7], v[2:3]
	v_mul_f64 v[10:11], v[4:5], v[2:3]
	s_delay_alu instid0(VALU_DEP_2) | instskip(NEXT) | instid1(VALU_DEP_2)
	v_fma_f64 v[2:3], v[4:5], v[0:1], -v[8:9]
	v_fma_f64 v[4:5], v[6:7], v[0:1], v[10:11]
	v_add_co_u32 v0, s0, 0x1110, v12
	s_delay_alu instid0(VALU_DEP_1)
	v_add_co_ci_u32_e64 v1, s0, 0, v13, s0
	ds_load_b128 v[10:13], v168 offset:336
	global_load_b128 v[6:9], v[0:1], off offset:336
	s_waitcnt vmcnt(0) lgkmcnt(0)
	v_mul_f64 v[14:15], v[12:13], v[8:9]
	v_mul_f64 v[16:17], v[10:11], v[8:9]
	s_delay_alu instid0(VALU_DEP_2) | instskip(NEXT) | instid1(VALU_DEP_2)
	v_fma_f64 v[8:9], v[10:11], v[6:7], -v[14:15]
	v_fma_f64 v[10:11], v[12:13], v[6:7], v[16:17]
	global_load_b128 v[12:15], v[0:1], off offset:672
	ds_load_b128 v[16:19], v168 offset:672
	s_waitcnt vmcnt(0) lgkmcnt(0)
	v_mul_f64 v[6:7], v[18:19], v[14:15]
	v_mul_f64 v[22:23], v[16:17], v[14:15]
	s_delay_alu instid0(VALU_DEP_2) | instskip(NEXT) | instid1(VALU_DEP_2)
	v_fma_f64 v[14:15], v[16:17], v[12:13], -v[6:7]
	v_fma_f64 v[16:17], v[18:19], v[12:13], v[22:23]
	global_load_b128 v[22:25], v[0:1], off offset:1008
	s_waitcnt vmcnt(0)
	v_mul_f64 v[6:7], v[28:29], v[24:25]
	v_mul_f64 v[12:13], v[26:27], v[24:25]
	s_delay_alu instid0(VALU_DEP_2) | instskip(NEXT) | instid1(VALU_DEP_2)
	v_fma_f64 v[24:25], v[26:27], v[22:23], -v[6:7]
	v_fma_f64 v[26:27], v[28:29], v[22:23], v[12:13]
	global_load_b128 v[28:31], v[0:1], off offset:1344
	s_waitcnt vmcnt(0)
	;; [unrolled: 7-line block ×10, first 2 shown]
	v_mul_f64 v[6:7], v[234:235], v[66:67]
	v_mul_f64 v[12:13], v[232:233], v[66:67]
	s_delay_alu instid0(VALU_DEP_2) | instskip(NEXT) | instid1(VALU_DEP_2)
	v_fma_f64 v[232:233], v[232:233], v[64:65], -v[6:7]
	v_fma_f64 v[234:235], v[234:235], v[64:65], v[12:13]
	ds_store_b128 v168, v[2:5]
	ds_store_b128 v168, v[8:11] offset:336
	ds_store_b128 v168, v[14:17] offset:672
	;; [unrolled: 1-line block ×12, first 2 shown]
	s_and_saveexec_b32 s1, vcc_lo
	s_cbranch_execz .LBB0_9
; %bb.8:
	s_clause 0x5
	global_load_b128 v[2:5], v[0:1], off offset:208
	global_load_b128 v[6:9], v[0:1], off offset:544
	;; [unrolled: 1-line block ×6, first 2 shown]
	ds_load_b128 v[30:33], v168 offset:208
	ds_load_b128 v[34:37], v168 offset:2224
	;; [unrolled: 1-line block ×8, first 2 shown]
	s_waitcnt vmcnt(5) lgkmcnt(7)
	v_mul_f64 v[18:19], v[32:33], v[4:5]
	v_mul_f64 v[4:5], v[30:31], v[4:5]
	s_delay_alu instid0(VALU_DEP_2) | instskip(NEXT) | instid1(VALU_DEP_2)
	v_fma_f64 v[30:31], v[30:31], v[2:3], -v[18:19]
	v_fma_f64 v[32:33], v[32:33], v[2:3], v[4:5]
	ds_load_b128 v[2:5], v168 offset:544
	s_waitcnt vmcnt(4) lgkmcnt(0)
	v_mul_f64 v[18:19], v[4:5], v[8:9]
	v_mul_f64 v[8:9], v[2:3], v[8:9]
	s_delay_alu instid0(VALU_DEP_2) | instskip(NEXT) | instid1(VALU_DEP_2)
	v_fma_f64 v[2:3], v[2:3], v[6:7], -v[18:19]
	v_fma_f64 v[4:5], v[4:5], v[6:7], v[8:9]
	ds_load_b128 v[6:9], v168 offset:880
	;; [unrolled: 7-line block ×5, first 2 shown]
	s_waitcnt vmcnt(0) lgkmcnt(0)
	v_mul_f64 v[18:19], v[24:25], v[28:29]
	v_mul_f64 v[28:29], v[22:23], v[28:29]
	s_delay_alu instid0(VALU_DEP_2) | instskip(NEXT) | instid1(VALU_DEP_2)
	v_fma_f64 v[22:23], v[22:23], v[26:27], -v[18:19]
	v_fma_f64 v[24:25], v[24:25], v[26:27], v[28:29]
	global_load_b128 v[26:29], v[0:1], off offset:2224
	s_waitcnt vmcnt(0)
	v_mul_f64 v[18:19], v[36:37], v[28:29]
	v_mul_f64 v[28:29], v[34:35], v[28:29]
	s_delay_alu instid0(VALU_DEP_2) | instskip(NEXT) | instid1(VALU_DEP_2)
	v_fma_f64 v[34:35], v[34:35], v[26:27], -v[18:19]
	v_fma_f64 v[36:37], v[36:37], v[26:27], v[28:29]
	global_load_b128 v[26:29], v[0:1], off offset:2560
	s_waitcnt vmcnt(0)
	v_mul_f64 v[18:19], v[40:41], v[28:29]
	v_mul_f64 v[28:29], v[38:39], v[28:29]
	s_delay_alu instid0(VALU_DEP_2) | instskip(NEXT) | instid1(VALU_DEP_2)
	v_fma_f64 v[38:39], v[38:39], v[26:27], -v[18:19]
	v_fma_f64 v[40:41], v[40:41], v[26:27], v[28:29]
	global_load_b128 v[26:29], v[0:1], off offset:2896
	s_waitcnt vmcnt(0)
	v_mul_f64 v[18:19], v[44:45], v[28:29]
	v_mul_f64 v[28:29], v[42:43], v[28:29]
	s_delay_alu instid0(VALU_DEP_2) | instskip(NEXT) | instid1(VALU_DEP_2)
	v_fma_f64 v[42:43], v[42:43], v[26:27], -v[18:19]
	v_fma_f64 v[44:45], v[44:45], v[26:27], v[28:29]
	global_load_b128 v[26:29], v[0:1], off offset:3232
	s_waitcnt vmcnt(0)
	v_mul_f64 v[18:19], v[48:49], v[28:29]
	v_mul_f64 v[28:29], v[46:47], v[28:29]
	s_delay_alu instid0(VALU_DEP_2) | instskip(NEXT) | instid1(VALU_DEP_2)
	v_fma_f64 v[46:47], v[46:47], v[26:27], -v[18:19]
	v_fma_f64 v[48:49], v[48:49], v[26:27], v[28:29]
	global_load_b128 v[26:29], v[0:1], off offset:3568
	s_waitcnt vmcnt(0)
	v_mul_f64 v[18:19], v[52:53], v[28:29]
	v_mul_f64 v[28:29], v[50:51], v[28:29]
	s_delay_alu instid0(VALU_DEP_2) | instskip(NEXT) | instid1(VALU_DEP_2)
	v_fma_f64 v[50:51], v[50:51], v[26:27], -v[18:19]
	v_fma_f64 v[52:53], v[52:53], v[26:27], v[28:29]
	global_load_b128 v[26:29], v[0:1], off offset:3904
	v_add_co_u32 v0, s0, 0x1000, v0
	s_delay_alu instid0(VALU_DEP_1) | instskip(SKIP_3) | instid1(VALU_DEP_2)
	v_add_co_ci_u32_e64 v1, s0, 0, v1, s0
	s_waitcnt vmcnt(0)
	v_mul_f64 v[18:19], v[56:57], v[28:29]
	v_mul_f64 v[28:29], v[54:55], v[28:29]
	v_fma_f64 v[54:55], v[54:55], v[26:27], -v[18:19]
	s_delay_alu instid0(VALU_DEP_2) | instskip(SKIP_4) | instid1(VALU_DEP_2)
	v_fma_f64 v[56:57], v[56:57], v[26:27], v[28:29]
	global_load_b128 v[26:29], v[0:1], off offset:144
	s_waitcnt vmcnt(0)
	v_mul_f64 v[0:1], v[60:61], v[28:29]
	v_mul_f64 v[18:19], v[58:59], v[28:29]
	v_fma_f64 v[58:59], v[58:59], v[26:27], -v[0:1]
	s_delay_alu instid0(VALU_DEP_2)
	v_fma_f64 v[60:61], v[60:61], v[26:27], v[18:19]
	ds_store_b128 v168, v[30:33] offset:208
	ds_store_b128 v168, v[2:5] offset:544
	;; [unrolled: 1-line block ×13, first 2 shown]
.LBB0_9:
	s_or_b32 exec_lo, exec_lo, s1
	s_waitcnt lgkmcnt(0)
	s_waitcnt_vscnt null, 0x0
	s_barrier
	buffer_gl0_inv
	ds_load_b128 v[224:227], v168
	ds_load_b128 v[228:231], v168 offset:336
	ds_load_b128 v[232:235], v168 offset:672
	;; [unrolled: 1-line block ×12, first 2 shown]
	s_and_saveexec_b32 s0, vcc_lo
	s_cbranch_execz .LBB0_11
; %bb.10:
	s_clause 0x1
	scratch_load_b32 v22, off, off
	scratch_load_b32 v23, off, off offset:312
	s_waitcnt vmcnt(0)
	v_lshl_add_u32 v22, v22, 4, v23
	ds_load_b128 v[192:195], v22 offset:544
	ds_load_b128 v[200:203], v22 offset:880
	;; [unrolled: 1-line block ×9, first 2 shown]
	s_waitcnt lgkmcnt(1)
	scratch_store_b128 off, v[23:26], off offset:76 ; 16-byte Folded Spill
	ds_load_b128 v[23:26], v22 offset:3232
	s_waitcnt lgkmcnt(0)
	scratch_store_b128 off, v[23:26], off offset:60 ; 16-byte Folded Spill
	ds_load_b128 v[23:26], v22 offset:3568
	s_waitcnt lgkmcnt(0)
	scratch_store_b128 off, v[23:26], off offset:44 ; 16-byte Folded Spill
	ds_load_b128 v[23:26], v22 offset:3904
	s_waitcnt lgkmcnt(0)
	scratch_store_b128 off, v[23:26], off offset:28 ; 16-byte Folded Spill
	ds_load_b128 v[22:25], v22 offset:4240
	s_waitcnt lgkmcnt(0)
	scratch_store_b128 off, v[22:25], off offset:12 ; 16-byte Folded Spill
.LBB0_11:
	s_or_b32 exec_lo, exec_lo, s0
	s_waitcnt lgkmcnt(11)
	v_add_f64 v[22:23], v[224:225], v[228:229]
	v_add_f64 v[24:25], v[226:227], v[230:231]
	s_waitcnt lgkmcnt(5)
	v_add_f64 v[32:33], v[18:19], v[14:15]
	v_add_f64 v[34:35], v[18:19], -v[14:15]
	s_waitcnt lgkmcnt(4)
	v_add_f64 v[50:51], v[6:7], v[10:11]
	v_add_f64 v[54:55], v[6:7], -v[10:11]
	s_mov_b32 s42, 0x4267c47c
	s_mov_b32 s24, 0x42a4c3d2
	;; [unrolled: 1-line block ×12, first 2 shown]
	s_waitcnt lgkmcnt(3)
	v_add_f64 v[56:57], v[254:255], v[2:3]
	v_add_f64 v[58:59], v[254:255], -v[2:3]
	s_waitcnt lgkmcnt(0)
	v_add_f64 v[28:29], v[230:231], v[238:239]
	s_mov_b32 s26, 0xe00740e9
	s_mov_b32 s16, 0x1ea71119
	;; [unrolled: 1-line block ×12, first 2 shown]
	v_add_f64 v[30:31], v[228:229], -v[236:237]
	s_mov_b32 s41, 0x3fcea1e5
	s_mov_b32 s40, s12
	v_add_f64 v[60:61], v[234:235], v[246:247]
	s_mov_b32 s29, 0x3fddbe06
	v_add_f64 v[22:23], v[22:23], v[232:233]
	v_add_f64 v[24:25], v[24:25], v[234:235]
	s_mov_b32 s28, s42
	s_mov_b32 s39, 0x3fea55e2
	;; [unrolled: 1-line block ×9, first 2 shown]
	v_mul_f64 v[106:107], v[32:33], s[0:1]
	v_mul_f64 v[112:113], v[50:51], s[14:15]
	s_waitcnt_vscnt null, 0x0
	s_barrier
	buffer_gl0_inv
	v_mul_f64 v[108:109], v[56:57], s[2:3]
	v_mul_f64 v[80:81], v[28:29], s[16:17]
	v_mul_f64 v[82:83], v[28:29], s[14:15]
	v_mul_f64 v[84:85], v[28:29], s[8:9]
	v_mul_f64 v[86:87], v[28:29], s[2:3]
	v_add_f64 v[22:23], v[22:23], v[240:241]
	v_add_f64 v[24:25], v[24:25], v[242:243]
	v_fma_f64 v[90:91], v[30:31], s[38:39], v[80:81]
	v_fma_f64 v[80:81], v[30:31], s[24:25], v[80:81]
	v_fma_f64 v[92:93], v[30:31], s[30:31], v[82:83]
	v_fma_f64 v[82:83], v[30:31], s[22:23], v[82:83]
	v_fma_f64 v[94:95], v[30:31], s[36:37], v[84:85]
	v_fma_f64 v[84:85], v[30:31], s[20:21], v[84:85]
	v_fma_f64 v[96:97], v[30:31], s[34:35], v[86:87]
	v_fma_f64 v[86:87], v[30:31], s[18:19], v[86:87]
	v_add_f64 v[22:23], v[22:23], v[252:253]
	v_add_f64 v[24:25], v[24:25], v[254:255]
	;; [unrolled: 1-line block ×9, first 2 shown]
	s_delay_alu instid0(VALU_DEP_2) | instskip(NEXT) | instid1(VALU_DEP_2)
	v_add_f64 v[24:25], v[22:23], v[16:17]
	v_add_f64 v[26:27], v[26:27], v[18:19]
	;; [unrolled: 1-line block ×3, first 2 shown]
	v_add_f64 v[16:17], v[16:17], -v[12:13]
	s_delay_alu instid0(VALU_DEP_4) | instskip(NEXT) | instid1(VALU_DEP_4)
	v_add_f64 v[18:19], v[24:25], v[12:13]
	v_add_f64 v[24:25], v[26:27], v[14:15]
	v_add_f64 v[12:13], v[4:5], v[8:9]
	v_add_f64 v[14:15], v[4:5], -v[8:9]
	v_add_f64 v[26:27], v[232:233], -v[244:245]
	v_add_f64 v[4:5], v[18:19], v[8:9]
	v_add_f64 v[6:7], v[24:25], v[10:11]
	;; [unrolled: 1-line block ×3, first 2 shown]
	v_add_f64 v[10:11], v[252:253], -v[0:1]
	v_add_f64 v[24:25], v[232:233], v[244:245]
	v_add_f64 v[232:233], v[234:235], -v[246:247]
	v_add_f64 v[252:253], v[242:243], v[250:251]
	;; [unrolled: 2-line block ×4, first 2 shown]
	v_fma_f64 v[114:115], v[14:15], s[22:23], v[112:113]
	v_add_f64 v[0:1], v[4:5], v[0:1]
	v_add_f64 v[4:5], v[230:231], -v[238:239]
	v_add_f64 v[2:3], v[6:7], v[2:3]
	v_add_f64 v[6:7], v[228:229], v[236:237]
	;; [unrolled: 1-line block ×3, first 2 shown]
	v_mul_f64 v[86:87], v[60:61], s[8:9]
	v_fma_f64 v[110:111], v[10:11], s[18:19], v[108:109]
	v_add_f64 v[0:1], v[0:1], v[248:249]
	v_mul_f64 v[36:37], v[4:5], s[42:43]
	v_mul_f64 v[38:39], v[4:5], s[24:25]
	;; [unrolled: 1-line block ×6, first 2 shown]
	v_add_f64 v[2:3], v[2:3], v[250:251]
	v_add_f64 v[0:1], v[0:1], v[244:245]
	v_fma_f64 v[46:47], v[6:7], s[26:27], v[36:37]
	v_fma_f64 v[36:37], v[6:7], s[26:27], -v[36:37]
	v_fma_f64 v[48:49], v[6:7], s[16:17], v[38:39]
	v_fma_f64 v[38:39], v[6:7], s[16:17], -v[38:39]
	;; [unrolled: 2-line block ×6, first 2 shown]
	v_mul_f64 v[6:7], v[28:29], s[26:27]
	v_mul_f64 v[28:29], v[28:29], s[0:1]
	v_add_f64 v[2:3], v[2:3], v[246:247]
	v_add_f64 v[0:1], v[0:1], v[236:237]
	v_add_f64 v[46:47], v[224:225], v[46:47]
	v_add_f64 v[248:249], v[224:225], v[48:49]
	v_add_f64 v[250:251], v[224:225], v[38:39]
	v_add_f64 v[254:255], v[224:225], v[52:53]
	v_add_f64 v[100:101], v[224:225], v[40:41]
	v_add_f64 v[104:105], v[224:225], v[62:63]
	v_add_f64 v[244:245], v[224:225], v[42:43]
	v_add_f64 v[236:237], v[224:225], v[64:65]
	v_add_f64 v[230:231], v[224:225], v[44:45]
	v_add_f64 v[66:67], v[224:225], v[66:67]
	v_mul_f64 v[40:41], v[242:243], s[22:23]
	v_fma_f64 v[88:89], v[30:31], s[28:29], v[6:7]
	v_fma_f64 v[98:99], v[30:31], s[40:41], v[28:29]
	v_fma_f64 v[246:247], v[30:31], s[12:13], v[28:29]
	v_add_f64 v[28:29], v[224:225], v[36:37]
	v_mul_f64 v[36:37], v[232:233], s[24:25]
	v_add_f64 v[224:225], v[224:225], v[4:5]
	v_fma_f64 v[6:7], v[30:31], s[42:43], v[6:7]
	v_mul_f64 v[38:39], v[60:61], s[16:17]
	v_add_f64 v[2:3], v[2:3], v[238:239]
	v_add_f64 v[238:239], v[226:227], v[84:85]
	v_fma_f64 v[42:43], v[18:19], s[14:15], v[40:41]
	v_add_f64 v[88:89], v[226:227], v[88:89]
	v_add_f64 v[64:65], v[226:227], v[98:99]
	;; [unrolled: 1-line block ×3, first 2 shown]
	v_fma_f64 v[4:5], v[24:25], s[16:17], v[36:37]
	v_add_f64 v[30:31], v[226:227], v[6:7]
	v_fma_f64 v[6:7], v[26:27], s[38:39], v[38:39]
	v_mul_f64 v[226:227], v[34:35], s[12:13]
	s_delay_alu instid0(VALU_DEP_4) | instskip(NEXT) | instid1(VALU_DEP_3)
	v_add_f64 v[4:5], v[4:5], v[46:47]
	v_add_f64 v[6:7], v[6:7], v[88:89]
	v_fma_f64 v[88:89], v[26:27], s[36:37], v[86:87]
	v_fma_f64 v[86:87], v[26:27], s[20:21], v[86:87]
	s_delay_alu instid0(VALU_DEP_4) | instskip(SKIP_1) | instid1(VALU_DEP_4)
	v_add_f64 v[4:5], v[42:43], v[4:5]
	v_mul_f64 v[42:43], v[252:253], s[14:15]
	v_add_f64 v[88:89], v[88:89], v[90:91]
	v_mul_f64 v[90:91], v[242:243], s[12:13]
	v_add_f64 v[80:81], v[86:87], v[80:81]
	s_delay_alu instid0(VALU_DEP_4) | instskip(NEXT) | instid1(VALU_DEP_3)
	v_fma_f64 v[44:45], v[240:241], s[30:31], v[42:43]
	v_fma_f64 v[96:97], v[18:19], s[0:1], v[90:91]
	v_fma_f64 v[86:87], v[18:19], s[0:1], -v[90:91]
	v_mul_f64 v[90:91], v[60:61], s[0:1]
	s_delay_alu instid0(VALU_DEP_4) | instskip(SKIP_1) | instid1(VALU_DEP_1)
	v_add_f64 v[6:7], v[44:45], v[6:7]
	v_mul_f64 v[44:45], v[58:59], s[20:21]
	v_fma_f64 v[46:47], v[8:9], s[8:9], v[44:45]
	s_delay_alu instid0(VALU_DEP_1) | instskip(SKIP_1) | instid1(VALU_DEP_1)
	v_add_f64 v[4:5], v[46:47], v[4:5]
	v_mul_f64 v[46:47], v[56:57], s[8:9]
	v_fma_f64 v[48:49], v[10:11], s[36:37], v[46:47]
	s_delay_alu instid0(VALU_DEP_1) | instskip(SKIP_1) | instid1(VALU_DEP_1)
	;; [unrolled: 4-line block ×4, first 2 shown]
	v_add_f64 v[6:7], v[82:83], v[6:7]
	v_fma_f64 v[82:83], v[22:23], s[0:1], v[226:227]
	v_add_f64 v[4:5], v[82:83], v[4:5]
	v_fma_f64 v[82:83], v[16:17], s[40:41], v[106:107]
	s_delay_alu instid0(VALU_DEP_1) | instskip(SKIP_1) | instid1(VALU_DEP_1)
	v_add_f64 v[6:7], v[82:83], v[6:7]
	v_mul_f64 v[82:83], v[232:233], s[20:21]
	v_fma_f64 v[84:85], v[24:25], s[8:9], v[82:83]
	v_fma_f64 v[82:83], v[24:25], s[8:9], -v[82:83]
	s_delay_alu instid0(VALU_DEP_2) | instskip(NEXT) | instid1(VALU_DEP_2)
	v_add_f64 v[84:85], v[84:85], v[248:249]
	v_add_f64 v[82:83], v[82:83], v[250:251]
	s_delay_alu instid0(VALU_DEP_2) | instskip(SKIP_1) | instid1(VALU_DEP_3)
	v_add_f64 v[84:85], v[96:97], v[84:85]
	v_mul_f64 v[96:97], v[252:253], s[0:1]
	v_add_f64 v[82:83], v[86:87], v[82:83]
	s_delay_alu instid0(VALU_DEP_2) | instskip(SKIP_1) | instid1(VALU_DEP_2)
	v_fma_f64 v[98:99], v[240:241], s[40:41], v[96:97]
	v_fma_f64 v[86:87], v[240:241], s[12:13], v[96:97]
	v_add_f64 v[88:89], v[98:99], v[88:89]
	v_mul_f64 v[98:99], v[58:59], s[34:35]
	s_delay_alu instid0(VALU_DEP_3) | instskip(NEXT) | instid1(VALU_DEP_3)
	v_add_f64 v[80:81], v[86:87], v[80:81]
	v_add_f64 v[88:89], v[110:111], v[88:89]
	s_delay_alu instid0(VALU_DEP_3) | instskip(SKIP_2) | instid1(VALU_DEP_4)
	v_fma_f64 v[246:247], v[8:9], s[2:3], v[98:99]
	v_mul_f64 v[110:111], v[54:55], s[30:31]
	v_fma_f64 v[86:87], v[8:9], s[2:3], -v[98:99]
	v_add_f64 v[88:89], v[114:115], v[88:89]
	s_delay_alu instid0(VALU_DEP_4) | instskip(NEXT) | instid1(VALU_DEP_4)
	v_add_f64 v[84:85], v[246:247], v[84:85]
	v_fma_f64 v[246:247], v[12:13], s[14:15], v[110:111]
	v_mul_f64 v[114:115], v[34:35], s[28:29]
	v_add_f64 v[82:83], v[86:87], v[82:83]
	v_fma_f64 v[86:87], v[10:11], s[34:35], v[108:109]
	s_delay_alu instid0(VALU_DEP_4) | instskip(NEXT) | instid1(VALU_DEP_4)
	v_add_f64 v[84:85], v[246:247], v[84:85]
	v_fma_f64 v[246:247], v[22:23], s[26:27], v[114:115]
	s_delay_alu instid0(VALU_DEP_3) | instskip(SKIP_1) | instid1(VALU_DEP_3)
	v_add_f64 v[80:81], v[86:87], v[80:81]
	v_fma_f64 v[86:87], v[12:13], s[14:15], -v[110:111]
	v_add_f64 v[246:247], v[246:247], v[84:85]
	v_mul_f64 v[84:85], v[32:33], s[26:27]
	s_delay_alu instid0(VALU_DEP_3) | instskip(SKIP_1) | instid1(VALU_DEP_3)
	v_add_f64 v[82:83], v[86:87], v[82:83]
	v_fma_f64 v[86:87], v[14:15], s[30:31], v[112:113]
	v_fma_f64 v[248:249], v[16:17], s[42:43], v[84:85]
	;; [unrolled: 1-line block ×3, first 2 shown]
	s_delay_alu instid0(VALU_DEP_3) | instskip(SKIP_1) | instid1(VALU_DEP_4)
	v_add_f64 v[86:87], v[86:87], v[80:81]
	v_fma_f64 v[80:81], v[22:23], s[26:27], -v[114:115]
	v_add_f64 v[248:249], v[248:249], v[88:89]
	v_mul_f64 v[88:89], v[232:233], s[12:13]
	s_delay_alu instid0(VALU_DEP_3)
	v_add_f64 v[80:81], v[80:81], v[82:83]
	v_add_f64 v[82:83], v[84:85], v[86:87]
	v_fma_f64 v[86:87], v[26:27], s[40:41], v[90:91]
	v_fma_f64 v[90:91], v[26:27], s[12:13], v[90:91]
	;; [unrolled: 1-line block ×3, first 2 shown]
	v_fma_f64 v[88:89], v[24:25], s[0:1], -v[88:89]
	s_delay_alu instid0(VALU_DEP_4) | instskip(SKIP_4) | instid1(VALU_DEP_4)
	v_add_f64 v[86:87], v[86:87], v[92:93]
	v_mul_f64 v[92:93], v[242:243], s[36:37]
	v_add_f64 v[90:91], v[90:91], v[102:103]
	v_add_f64 v[84:85], v[84:85], v[254:255]
	;; [unrolled: 1-line block ×3, first 2 shown]
	v_fma_f64 v[96:97], v[18:19], s[8:9], v[92:93]
	v_fma_f64 v[92:93], v[18:19], s[8:9], -v[92:93]
	s_delay_alu instid0(VALU_DEP_2) | instskip(SKIP_1) | instid1(VALU_DEP_3)
	v_add_f64 v[84:85], v[96:97], v[84:85]
	v_mul_f64 v[96:97], v[252:253], s[8:9]
	v_add_f64 v[88:89], v[92:93], v[88:89]
	s_delay_alu instid0(VALU_DEP_2) | instskip(SKIP_1) | instid1(VALU_DEP_2)
	v_fma_f64 v[98:99], v[240:241], s[20:21], v[96:97]
	v_fma_f64 v[92:93], v[240:241], s[36:37], v[96:97]
	v_add_f64 v[86:87], v[98:99], v[86:87]
	v_mul_f64 v[98:99], v[58:59], s[28:29]
	s_delay_alu instid0(VALU_DEP_3) | instskip(NEXT) | instid1(VALU_DEP_2)
	v_add_f64 v[90:91], v[92:93], v[90:91]
	v_fma_f64 v[108:109], v[8:9], s[26:27], v[98:99]
	v_fma_f64 v[92:93], v[8:9], s[26:27], -v[98:99]
	v_mul_f64 v[98:99], v[60:61], s[2:3]
	s_delay_alu instid0(VALU_DEP_3) | instskip(SKIP_1) | instid1(VALU_DEP_4)
	v_add_f64 v[84:85], v[108:109], v[84:85]
	v_mul_f64 v[108:109], v[56:57], s[26:27]
	v_add_f64 v[88:89], v[92:93], v[88:89]
	s_delay_alu instid0(VALU_DEP_4) | instskip(SKIP_1) | instid1(VALU_DEP_4)
	v_fma_f64 v[100:101], v[26:27], s[18:19], v[98:99]
	v_fma_f64 v[98:99], v[26:27], s[34:35], v[98:99]
	;; [unrolled: 1-line block ×4, first 2 shown]
	s_delay_alu instid0(VALU_DEP_4)
	v_add_f64 v[94:95], v[100:101], v[94:95]
	v_mul_f64 v[100:101], v[242:243], s[28:29]
	v_add_f64 v[98:99], v[98:99], v[238:239]
	v_mul_f64 v[238:239], v[56:57], s[0:1]
	;; [unrolled: 2-line block ×3, first 2 shown]
	v_add_f64 v[90:91], v[92:93], v[90:91]
	v_fma_f64 v[102:103], v[18:19], s[26:27], v[100:101]
	v_fma_f64 v[100:101], v[18:19], s[26:27], -v[100:101]
	s_delay_alu instid0(VALU_DEP_4) | instskip(SKIP_1) | instid1(VALU_DEP_2)
	v_fma_f64 v[112:113], v[12:13], s[16:17], v[110:111]
	v_fma_f64 v[92:93], v[12:13], s[16:17], -v[110:111]
	v_add_f64 v[84:85], v[112:113], v[84:85]
	v_mul_f64 v[112:113], v[50:51], s[16:17]
	s_delay_alu instid0(VALU_DEP_3) | instskip(NEXT) | instid1(VALU_DEP_2)
	v_add_f64 v[88:89], v[92:93], v[88:89]
	v_fma_f64 v[114:115], v[14:15], s[38:39], v[112:113]
	v_fma_f64 v[92:93], v[14:15], s[24:25], v[112:113]
	s_delay_alu instid0(VALU_DEP_2) | instskip(SKIP_1) | instid1(VALU_DEP_3)
	v_add_f64 v[86:87], v[114:115], v[86:87]
	v_mul_f64 v[114:115], v[34:35], s[18:19]
	v_add_f64 v[90:91], v[92:93], v[90:91]
	s_delay_alu instid0(VALU_DEP_2) | instskip(SKIP_1) | instid1(VALU_DEP_2)
	v_fma_f64 v[250:251], v[22:23], s[2:3], v[114:115]
	v_fma_f64 v[92:93], v[22:23], s[2:3], -v[114:115]
	v_add_f64 v[84:85], v[250:251], v[84:85]
	v_mul_f64 v[250:251], v[32:33], s[2:3]
	s_delay_alu instid0(VALU_DEP_3) | instskip(NEXT) | instid1(VALU_DEP_2)
	v_add_f64 v[88:89], v[92:93], v[88:89]
	v_fma_f64 v[96:97], v[16:17], s[18:19], v[250:251]
	v_fma_f64 v[254:255], v[16:17], s[34:35], v[250:251]
	s_delay_alu instid0(VALU_DEP_2) | instskip(SKIP_1) | instid1(VALU_DEP_3)
	v_add_f64 v[90:91], v[96:97], v[90:91]
	v_mul_f64 v[96:97], v[232:233], s[34:35]
	v_add_f64 v[86:87], v[254:255], v[86:87]
	s_delay_alu instid0(VALU_DEP_2) | instskip(SKIP_1) | instid1(VALU_DEP_2)
	v_fma_f64 v[92:93], v[24:25], s[2:3], v[96:97]
	v_fma_f64 v[96:97], v[24:25], s[2:3], -v[96:97]
	v_add_f64 v[92:93], v[92:93], v[104:105]
	s_delay_alu instid0(VALU_DEP_2) | instskip(SKIP_1) | instid1(VALU_DEP_3)
	v_add_f64 v[96:97], v[96:97], v[244:245]
	v_mul_f64 v[244:245], v[54:55], s[28:29]
	v_add_f64 v[92:93], v[102:103], v[92:93]
	v_mul_f64 v[102:103], v[252:253], s[26:27]
	s_delay_alu instid0(VALU_DEP_4) | instskip(NEXT) | instid1(VALU_DEP_2)
	v_add_f64 v[96:97], v[100:101], v[96:97]
	v_fma_f64 v[104:105], v[240:241], s[42:43], v[102:103]
	v_fma_f64 v[100:101], v[240:241], s[28:29], v[102:103]
	s_delay_alu instid0(VALU_DEP_2) | instskip(SKIP_1) | instid1(VALU_DEP_3)
	v_add_f64 v[94:95], v[104:105], v[94:95]
	v_mul_f64 v[104:105], v[58:59], s[22:23]
	v_add_f64 v[98:99], v[100:101], v[98:99]
	s_delay_alu instid0(VALU_DEP_2) | instskip(SKIP_3) | instid1(VALU_DEP_4)
	v_fma_f64 v[108:109], v[8:9], s[14:15], v[104:105]
	v_fma_f64 v[100:101], v[8:9], s[14:15], -v[104:105]
	v_mul_f64 v[104:105], v[60:61], s[14:15]
	v_mul_f64 v[60:61], v[60:61], s[26:27]
	v_add_f64 v[92:93], v[108:109], v[92:93]
	v_mul_f64 v[108:109], v[56:57], s[14:15]
	v_add_f64 v[96:97], v[100:101], v[96:97]
	v_mul_f64 v[56:57], v[56:57], s[16:17]
	s_delay_alu instid0(VALU_DEP_3) | instskip(SKIP_3) | instid1(VALU_DEP_4)
	v_fma_f64 v[110:111], v[10:11], s[30:31], v[108:109]
	v_fma_f64 v[100:101], v[10:11], s[22:23], v[108:109]
	;; [unrolled: 1-line block ×4, first 2 shown]
	v_add_f64 v[94:95], v[110:111], v[94:95]
	v_mul_f64 v[110:111], v[54:55], s[40:41]
	v_add_f64 v[98:99], v[100:101], v[98:99]
	v_add_f64 v[108:109], v[108:109], v[234:235]
	;; [unrolled: 1-line block ×3, first 2 shown]
	v_mul_f64 v[54:55], v[54:55], s[20:21]
	v_fma_f64 v[112:113], v[12:13], s[0:1], v[110:111]
	v_fma_f64 v[100:101], v[12:13], s[0:1], -v[110:111]
	v_mul_f64 v[110:111], v[242:243], s[24:25]
	s_delay_alu instid0(VALU_DEP_3) | instskip(SKIP_1) | instid1(VALU_DEP_4)
	v_add_f64 v[92:93], v[112:113], v[92:93]
	v_mul_f64 v[112:113], v[50:51], s[0:1]
	v_add_f64 v[96:97], v[100:101], v[96:97]
	s_delay_alu instid0(VALU_DEP_2) | instskip(SKIP_2) | instid1(VALU_DEP_3)
	v_fma_f64 v[114:115], v[14:15], s[12:13], v[112:113]
	v_fma_f64 v[100:101], v[14:15], s[40:41], v[112:113]
	;; [unrolled: 1-line block ×3, first 2 shown]
	v_add_f64 v[94:95], v[114:115], v[94:95]
	v_mul_f64 v[114:115], v[34:35], s[38:39]
	s_delay_alu instid0(VALU_DEP_4) | instskip(NEXT) | instid1(VALU_DEP_2)
	v_add_f64 v[98:99], v[100:101], v[98:99]
	v_fma_f64 v[250:251], v[22:23], s[16:17], v[114:115]
	v_fma_f64 v[100:101], v[22:23], s[16:17], -v[114:115]
	s_delay_alu instid0(VALU_DEP_2) | instskip(SKIP_1) | instid1(VALU_DEP_3)
	v_add_f64 v[92:93], v[250:251], v[92:93]
	v_mul_f64 v[250:251], v[32:33], s[16:17]
	v_add_f64 v[96:97], v[100:101], v[96:97]
	v_mul_f64 v[100:101], v[232:233], s[30:31]
	s_delay_alu instid0(VALU_DEP_3) | instskip(SKIP_3) | instid1(VALU_DEP_4)
	v_fma_f64 v[102:103], v[16:17], s[38:39], v[250:251]
	v_fma_f64 v[254:255], v[16:17], s[24:25], v[250:251]
	v_mul_f64 v[250:251], v[50:51], s[26:27]
	v_mul_f64 v[50:51], v[50:51], s[8:9]
	v_add_f64 v[98:99], v[102:103], v[98:99]
	v_fma_f64 v[102:103], v[24:25], s[14:15], v[100:101]
	v_add_f64 v[94:95], v[254:255], v[94:95]
	v_mul_f64 v[254:255], v[34:35], s[20:21]
	v_fma_f64 v[100:101], v[24:25], s[14:15], -v[100:101]
	s_delay_alu instid0(VALU_DEP_4) | instskip(NEXT) | instid1(VALU_DEP_2)
	v_add_f64 v[102:103], v[102:103], v[236:237]
	v_add_f64 v[100:101], v[100:101], v[230:231]
	s_delay_alu instid0(VALU_DEP_2) | instskip(SKIP_1) | instid1(VALU_DEP_1)
	v_add_f64 v[102:103], v[112:113], v[102:103]
	v_mul_f64 v[112:113], v[252:253], s[16:17]
	v_fma_f64 v[114:115], v[240:241], s[38:39], v[112:113]
	s_delay_alu instid0(VALU_DEP_1) | instskip(SKIP_2) | instid1(VALU_DEP_2)
	v_add_f64 v[108:109], v[114:115], v[108:109]
	v_mul_f64 v[114:115], v[58:59], s[40:41]
	v_mul_f64 v[58:59], v[58:59], s[38:39]
	v_fma_f64 v[234:235], v[8:9], s[0:1], v[114:115]
	s_delay_alu instid0(VALU_DEP_1) | instskip(SKIP_1) | instid1(VALU_DEP_1)
	v_add_f64 v[102:103], v[234:235], v[102:103]
	v_fma_f64 v[234:235], v[10:11], s[12:13], v[238:239]
	v_add_f64 v[108:109], v[234:235], v[108:109]
	v_fma_f64 v[234:235], v[12:13], s[26:27], v[244:245]
	s_delay_alu instid0(VALU_DEP_1) | instskip(SKIP_1) | instid1(VALU_DEP_1)
	v_add_f64 v[102:103], v[234:235], v[102:103]
	v_fma_f64 v[234:235], v[14:15], s[42:43], v[250:251]
	v_add_f64 v[108:109], v[234:235], v[108:109]
	v_fma_f64 v[234:235], v[22:23], s[8:9], v[254:255]
	s_delay_alu instid0(VALU_DEP_1) | instskip(SKIP_1) | instid1(VALU_DEP_1)
	v_add_f64 v[234:235], v[234:235], v[102:103]
	v_mul_f64 v[102:103], v[32:33], s[8:9]
	v_fma_f64 v[236:237], v[16:17], s[36:37], v[102:103]
	v_fma_f64 v[102:103], v[16:17], s[20:21], v[102:103]
	s_delay_alu instid0(VALU_DEP_2)
	v_add_f64 v[236:237], v[236:237], v[108:109]
	v_fma_f64 v[108:109], v[18:19], s[16:17], -v[110:111]
	v_mul_f64 v[110:111], v[32:33], s[14:15]
	ds_store_b128 v169, v[4:7] offset:16
	ds_store_b128 v169, v[246:249] offset:32
	;; [unrolled: 1-line block ×5, first 2 shown]
	v_add_f64 v[100:101], v[108:109], v[100:101]
	v_fma_f64 v[108:109], v[240:241], s[24:25], v[112:113]
	s_delay_alu instid0(VALU_DEP_1) | instskip(SKIP_1) | instid1(VALU_DEP_1)
	v_add_f64 v[104:105], v[108:109], v[104:105]
	v_fma_f64 v[108:109], v[8:9], s[0:1], -v[114:115]
	v_add_f64 v[100:101], v[108:109], v[100:101]
	v_fma_f64 v[108:109], v[10:11], s[40:41], v[238:239]
	s_delay_alu instid0(VALU_DEP_1) | instskip(SKIP_1) | instid1(VALU_DEP_1)
	v_add_f64 v[104:105], v[108:109], v[104:105]
	v_fma_f64 v[108:109], v[12:13], s[26:27], -v[244:245]
	v_add_f64 v[100:101], v[108:109], v[100:101]
	v_fma_f64 v[108:109], v[14:15], s[28:29], v[250:251]
	s_delay_alu instid0(VALU_DEP_1) | instskip(SKIP_1) | instid1(VALU_DEP_2)
	v_add_f64 v[104:105], v[108:109], v[104:105]
	v_fma_f64 v[108:109], v[22:23], s[8:9], -v[254:255]
	v_add_f64 v[230:231], v[102:103], v[104:105]
	s_delay_alu instid0(VALU_DEP_2) | instskip(SKIP_1) | instid1(VALU_DEP_1)
	v_add_f64 v[228:229], v[108:109], v[100:101]
	v_mul_f64 v[100:101], v[232:233], s[28:29]
	v_fma_f64 v[102:103], v[24:25], s[26:27], v[100:101]
	s_delay_alu instid0(VALU_DEP_1) | instskip(SKIP_3) | instid1(VALU_DEP_3)
	v_add_f64 v[66:67], v[102:103], v[66:67]
	v_fma_f64 v[102:103], v[26:27], s[42:43], v[60:61]
	v_fma_f64 v[60:61], v[26:27], s[28:29], v[60:61]
	;; [unrolled: 1-line block ×3, first 2 shown]
	v_add_f64 v[64:65], v[102:103], v[64:65]
	v_mul_f64 v[102:103], v[242:243], s[18:19]
	s_delay_alu instid0(VALU_DEP_4) | instskip(NEXT) | instid1(VALU_DEP_4)
	v_add_f64 v[60:61], v[60:61], v[62:63]
	v_add_f64 v[26:27], v[26:27], v[30:31]
	s_delay_alu instid0(VALU_DEP_3) | instskip(SKIP_3) | instid1(VALU_DEP_4)
	v_fma_f64 v[104:105], v[18:19], s[2:3], v[102:103]
	v_fma_f64 v[62:63], v[18:19], s[2:3], -v[102:103]
	v_fma_f64 v[18:19], v[18:19], s[14:15], -v[40:41]
	v_add_nc_u32_e32 v40, 0x1a0, v171
	v_add_f64 v[66:67], v[104:105], v[66:67]
	v_mul_f64 v[104:105], v[252:253], s[2:3]
	s_delay_alu instid0(VALU_DEP_1) | instskip(NEXT) | instid1(VALU_DEP_1)
	v_fma_f64 v[108:109], v[240:241], s[34:35], v[104:105]
	v_add_f64 v[64:65], v[108:109], v[64:65]
	v_fma_f64 v[108:109], v[8:9], s[16:17], v[58:59]
	v_fma_f64 v[58:59], v[8:9], s[16:17], -v[58:59]
	v_fma_f64 v[8:9], v[8:9], s[8:9], -v[44:45]
	s_delay_alu instid0(VALU_DEP_3) | instskip(SKIP_3) | instid1(VALU_DEP_3)
	v_add_f64 v[66:67], v[108:109], v[66:67]
	v_fma_f64 v[108:109], v[10:11], s[24:25], v[56:57]
	v_fma_f64 v[56:57], v[10:11], s[38:39], v[56:57]
	;; [unrolled: 1-line block ×3, first 2 shown]
	v_add_f64 v[64:65], v[108:109], v[64:65]
	v_fma_f64 v[108:109], v[12:13], s[8:9], v[54:55]
	v_fma_f64 v[54:55], v[12:13], s[8:9], -v[54:55]
	v_fma_f64 v[12:13], v[12:13], s[2:3], -v[48:49]
	s_delay_alu instid0(VALU_DEP_3) | instskip(SKIP_3) | instid1(VALU_DEP_3)
	v_add_f64 v[66:67], v[108:109], v[66:67]
	v_fma_f64 v[108:109], v[14:15], s[36:37], v[50:51]
	v_fma_f64 v[50:51], v[14:15], s[20:21], v[50:51]
	;; [unrolled: 1-line block ×3, first 2 shown]
	v_add_f64 v[64:65], v[108:109], v[64:65]
	v_mul_f64 v[108:109], v[34:35], s[30:31]
	v_fma_f64 v[34:35], v[16:17], s[22:23], v[110:111]
	s_delay_alu instid0(VALU_DEP_2) | instskip(NEXT) | instid1(VALU_DEP_2)
	v_fma_f64 v[32:33], v[22:23], s[14:15], v[108:109]
	v_add_f64 v[34:35], v[34:35], v[64:65]
	v_fma_f64 v[64:65], v[24:25], s[26:27], -v[100:101]
	v_fma_f64 v[24:25], v[24:25], s[16:17], -v[36:37]
	s_delay_alu instid0(VALU_DEP_4) | instskip(NEXT) | instid1(VALU_DEP_3)
	v_add_f64 v[32:33], v[32:33], v[66:67]
	v_add_f64 v[64:65], v[64:65], v[224:225]
	s_delay_alu instid0(VALU_DEP_3) | instskip(SKIP_1) | instid1(VALU_DEP_3)
	v_add_f64 v[24:25], v[24:25], v[28:29]
	v_fma_f64 v[28:29], v[240:241], s[22:23], v[42:43]
	v_add_f64 v[62:63], v[62:63], v[64:65]
	v_fma_f64 v[64:65], v[240:241], s[18:19], v[104:105]
	s_delay_alu instid0(VALU_DEP_4) | instskip(NEXT) | instid1(VALU_DEP_4)
	v_add_f64 v[18:19], v[18:19], v[24:25]
	v_add_f64 v[24:25], v[28:29], v[26:27]
	s_delay_alu instid0(VALU_DEP_4) | instskip(NEXT) | instid1(VALU_DEP_4)
	v_add_f64 v[58:59], v[58:59], v[62:63]
	v_add_f64 v[60:61], v[64:65], v[60:61]
	;; [unrolled: 3-line block ×4, first 2 shown]
	v_fma_f64 v[58:59], v[16:17], s[30:31], v[110:111]
	v_add_f64 v[8:9], v[12:13], v[8:9]
	v_add_f64 v[10:11], v[14:15], v[10:11]
	v_fma_f64 v[12:13], v[22:23], s[0:1], -v[226:227]
	v_fma_f64 v[14:15], v[16:17], s[12:13], v[106:107]
	v_add_f64 v[50:51], v[50:51], v[56:57]
	v_fma_f64 v[56:57], v[22:23], s[14:15], -v[108:109]
	s_delay_alu instid0(VALU_DEP_4) | instskip(NEXT) | instid1(VALU_DEP_4)
	v_add_f64 v[8:9], v[12:13], v[8:9]
	v_add_f64 v[10:11], v[14:15], v[10:11]
	s_delay_alu instid0(VALU_DEP_3)
	v_add_f64 v[54:55], v[56:57], v[54:55]
	v_add_f64 v[56:57], v[58:59], v[50:51]
	ds_store_b128 v169, v[32:35] offset:96
	ds_store_b128 v169, v[54:57] offset:112
	;; [unrolled: 1-line block ×3, first 2 shown]
	ds_store_b128 v169, v[0:3]
	ds_store_b128 v169, v[96:99] offset:144
	ds_store_b128 v169, v[88:91] offset:160
	;; [unrolled: 1-line block ×4, first 2 shown]
	s_and_saveexec_b32 s33, vcc_lo
	s_cbranch_execz .LBB0_13
; %bb.12:
	v_dual_mov_b32 v24, v20 :: v_dual_mov_b32 v25, v21
	scratch_load_b128 v[20:23], off, off offset:76 ; 16-byte Folded Reload
	v_add_f64 v[0:1], v[198:199], v[194:195]
	v_add_f64 v[2:3], v[196:197], v[192:193]
	v_add_f64 v[4:5], v[220:221], -v[216:217]
	v_add_f64 v[6:7], v[222:223], -v[218:219]
	scratch_load_b128 v[32:35], off, off offset:12 ; 16-byte Folded Reload
	v_add_f64 v[0:1], v[0:1], v[202:203]
	v_add_f64 v[2:3], v[2:3], v[200:201]
	s_delay_alu instid0(VALU_DEP_2) | instskip(NEXT) | instid1(VALU_DEP_2)
	v_add_f64 v[0:1], v[0:1], v[206:207]
	v_add_f64 v[2:3], v[2:3], v[204:205]
	s_delay_alu instid0(VALU_DEP_2) | instskip(NEXT) | instid1(VALU_DEP_2)
	;; [unrolled: 3-line block ×4, first 2 shown]
	v_add_f64 v[8:9], v[0:1], v[222:223]
	v_add_f64 v[10:11], v[2:3], v[220:221]
	;; [unrolled: 1-line block ×4, first 2 shown]
	s_delay_alu instid0(VALU_DEP_4) | instskip(NEXT) | instid1(VALU_DEP_4)
	v_add_f64 v[16:17], v[8:9], v[218:219]
	v_add_f64 v[18:19], v[10:11], v[216:217]
	s_waitcnt vmcnt(1)
	v_add_f64 v[12:13], v[212:213], -v[20:21]
	v_add_f64 v[8:9], v[214:215], v[22:23]
	v_add_f64 v[10:11], v[212:213], v[20:21]
	v_add_f64 v[14:15], v[214:215], -v[22:23]
	v_add_f64 v[16:17], v[16:17], v[22:23]
	v_add_f64 v[18:19], v[18:19], v[20:21]
	v_dual_mov_b32 v21, v25 :: v_dual_mov_b32 v20, v24
	scratch_load_b128 v[22:25], off, off offset:60 ; 16-byte Folded Reload
	s_waitcnt vmcnt(1)
	v_add_f64 v[26:27], v[194:195], v[34:35]
	v_add_f64 v[28:29], v[192:193], v[32:33]
	v_add_f64 v[30:31], v[194:195], -v[34:35]
	s_delay_alu instid0(VALU_DEP_1) | instskip(SKIP_3) | instid1(VALU_DEP_4)
	v_mul_f64 v[55:56], v[30:31], s[18:19]
	v_mul_f64 v[57:58], v[30:31], s[20:21]
	;; [unrolled: 1-line block ×4, first 2 shown]
	v_fma_f64 v[100:101], v[28:29], s[2:3], -v[55:56]
	v_fma_f64 v[55:56], v[28:29], s[2:3], v[55:56]
	v_fma_f64 v[102:103], v[28:29], s[8:9], -v[57:58]
	v_fma_f64 v[57:58], v[28:29], s[8:9], v[57:58]
	;; [unrolled: 2-line block ×4, first 2 shown]
	v_add_f64 v[100:101], v[196:197], v[100:101]
	v_add_f64 v[55:56], v[196:197], v[55:56]
	;; [unrolled: 1-line block ×8, first 2 shown]
	s_waitcnt vmcnt(0)
	v_add_f64 v[38:39], v[208:209], -v[22:23]
	v_add_f64 v[65:66], v[210:211], v[24:25]
	v_add_f64 v[80:81], v[208:209], v[22:23]
	v_add_f64 v[82:83], v[210:211], -v[24:25]
	v_add_f64 v[16:17], v[16:17], v[24:25]
	v_add_f64 v[18:19], v[18:19], v[22:23]
	scratch_load_b128 v[22:25], off, off offset:44 ; 16-byte Folded Reload
	s_waitcnt vmcnt(0)
	v_add_f64 v[84:85], v[204:205], -v[22:23]
	v_add_f64 v[86:87], v[206:207], v[24:25]
	v_add_f64 v[88:89], v[204:205], v[22:23]
	v_add_f64 v[90:91], v[206:207], -v[24:25]
	v_add_f64 v[16:17], v[16:17], v[24:25]
	v_add_f64 v[18:19], v[18:19], v[22:23]
	scratch_load_b128 v[22:25], off, off offset:28 ; 16-byte Folded Reload
	s_waitcnt vmcnt(0)
	v_add_f64 v[92:93], v[200:201], -v[22:23]
	v_add_f64 v[94:95], v[202:203], v[24:25]
	v_add_f64 v[96:97], v[200:201], v[22:23]
	v_add_f64 v[98:99], v[202:203], -v[24:25]
	v_add_f64 v[16:17], v[16:17], v[24:25]
	v_add_f64 v[22:23], v[18:19], v[22:23]
	v_add_f64 v[24:25], v[192:193], -v[32:33]
	v_mul_f64 v[200:201], v[4:5], s[30:31]
	v_mul_f64 v[202:203], v[6:7], s[30:31]
	v_add_f64 v[18:19], v[16:17], v[34:35]
	v_add_f64 v[16:17], v[22:23], v[32:33]
	v_mul_f64 v[22:23], v[24:25], s[12:13]
	v_mul_f64 v[32:33], v[24:25], s[18:19]
	;; [unrolled: 1-line block ×6, first 2 shown]
	v_fma_f64 v[43:44], v[26:27], s[0:1], v[22:23]
	v_fma_f64 v[22:23], v[26:27], s[0:1], -v[22:23]
	v_fma_f64 v[45:46], v[26:27], s[2:3], v[32:33]
	v_fma_f64 v[32:33], v[26:27], s[2:3], -v[32:33]
	;; [unrolled: 2-line block ×6, first 2 shown]
	v_mul_f64 v[26:27], v[30:31], s[12:13]
	v_mul_f64 v[30:31], v[30:31], s[42:43]
	v_add_f64 v[45:46], v[198:199], v[45:46]
	v_add_f64 v[110:111], v[198:199], v[32:33]
	v_mul_f64 v[32:33], v[84:85], s[18:19]
	v_add_f64 v[112:113], v[198:199], v[34:35]
	v_add_f64 v[47:48], v[198:199], v[47:48]
	;; [unrolled: 1-line block ×7, first 2 shown]
	v_fma_f64 v[63:64], v[28:29], s[0:1], -v[26:27]
	v_fma_f64 v[26:27], v[28:29], s[0:1], v[26:27]
	v_fma_f64 v[108:109], v[28:29], s[26:27], -v[30:31]
	v_fma_f64 v[28:29], v[28:29], s[26:27], v[30:31]
	v_add_f64 v[30:31], v[198:199], v[43:44]
	v_fma_f64 v[34:35], v[86:87], s[2:3], v[32:33]
	v_add_f64 v[43:44], v[196:197], v[63:64]
	v_add_f64 v[26:27], v[196:197], v[26:27]
	;; [unrolled: 1-line block ×4, first 2 shown]
	v_mul_f64 v[28:29], v[92:93], s[28:29]
	v_add_f64 v[63:64], v[198:199], v[22:23]
	v_add_f64 v[198:199], v[198:199], v[24:25]
	s_delay_alu instid0(VALU_DEP_3) | instskip(SKIP_1) | instid1(VALU_DEP_2)
	v_fma_f64 v[22:23], v[94:95], s[26:27], v[28:29]
	v_fma_f64 v[28:29], v[94:95], s[26:27], -v[28:29]
	v_add_f64 v[22:23], v[22:23], v[30:31]
	v_mul_f64 v[30:31], v[98:99], s[28:29]
	s_delay_alu instid0(VALU_DEP_3) | instskip(NEXT) | instid1(VALU_DEP_3)
	v_add_f64 v[28:29], v[28:29], v[63:64]
	v_add_f64 v[22:23], v[34:35], v[22:23]
	s_delay_alu instid0(VALU_DEP_3) | instskip(SKIP_2) | instid1(VALU_DEP_3)
	v_fma_f64 v[24:25], v[96:97], s[26:27], -v[30:31]
	v_mul_f64 v[34:35], v[90:91], s[18:19]
	v_fma_f64 v[30:31], v[96:97], s[26:27], v[30:31]
	v_add_f64 v[24:25], v[24:25], v[43:44]
	s_delay_alu instid0(VALU_DEP_3) | instskip(NEXT) | instid1(VALU_DEP_3)
	v_fma_f64 v[36:37], v[88:89], s[2:3], -v[34:35]
	v_add_f64 v[26:27], v[30:31], v[26:27]
	v_fma_f64 v[30:31], v[86:87], s[2:3], -v[32:33]
	v_fma_f64 v[32:33], v[2:3], s[14:15], v[202:203]
	s_delay_alu instid0(VALU_DEP_4) | instskip(SKIP_1) | instid1(VALU_DEP_4)
	v_add_f64 v[24:25], v[36:37], v[24:25]
	v_mul_f64 v[36:37], v[38:39], s[38:39]
	v_add_f64 v[28:29], v[30:31], v[28:29]
	v_fma_f64 v[30:31], v[88:89], s[2:3], v[34:35]
	v_mul_f64 v[34:35], v[92:93], s[30:31]
	s_delay_alu instid0(VALU_DEP_4) | instskip(NEXT) | instid1(VALU_DEP_3)
	v_fma_f64 v[41:42], v[65:66], s[16:17], v[36:37]
	v_add_f64 v[26:27], v[30:31], v[26:27]
	v_fma_f64 v[30:31], v[65:66], s[16:17], -v[36:37]
	v_mul_f64 v[36:37], v[98:99], s[30:31]
	s_delay_alu instid0(VALU_DEP_4) | instskip(SKIP_1) | instid1(VALU_DEP_4)
	v_add_f64 v[22:23], v[41:42], v[22:23]
	v_mul_f64 v[41:42], v[82:83], s[38:39]
	v_add_f64 v[28:29], v[30:31], v[28:29]
	s_delay_alu instid0(VALU_DEP_2) | instskip(SKIP_2) | instid1(VALU_DEP_3)
	v_fma_f64 v[43:44], v[80:81], s[16:17], -v[41:42]
	v_fma_f64 v[30:31], v[80:81], s[16:17], v[41:42]
	v_mul_f64 v[41:42], v[84:85], s[24:25]
	v_add_f64 v[24:25], v[43:44], v[24:25]
	v_mul_f64 v[43:44], v[12:13], s[20:21]
	s_delay_alu instid0(VALU_DEP_4) | instskip(NEXT) | instid1(VALU_DEP_2)
	v_add_f64 v[26:27], v[30:31], v[26:27]
	v_fma_f64 v[51:52], v[8:9], s[8:9], v[43:44]
	v_fma_f64 v[30:31], v[8:9], s[8:9], -v[43:44]
	v_fma_f64 v[43:44], v[86:87], s[16:17], v[41:42]
	v_fma_f64 v[41:42], v[86:87], s[16:17], -v[41:42]
	s_delay_alu instid0(VALU_DEP_4) | instskip(SKIP_2) | instid1(VALU_DEP_2)
	v_add_f64 v[22:23], v[51:52], v[22:23]
	v_mul_f64 v[51:52], v[14:15], s[20:21]
	v_add_f64 v[28:29], v[30:31], v[28:29]
	v_fma_f64 v[30:31], v[10:11], s[8:9], v[51:52]
	v_fma_f64 v[53:54], v[10:11], s[8:9], -v[51:52]
	s_delay_alu instid0(VALU_DEP_2) | instskip(SKIP_1) | instid1(VALU_DEP_3)
	v_add_f64 v[26:27], v[30:31], v[26:27]
	v_fma_f64 v[30:31], v[0:1], s[14:15], -v[200:201]
	v_add_f64 v[53:54], v[53:54], v[24:25]
	v_fma_f64 v[24:25], v[0:1], s[14:15], v[200:201]
	v_mul_f64 v[200:201], v[4:5], s[20:21]
	v_add_f64 v[26:27], v[32:33], v[26:27]
	v_add_f64 v[28:29], v[30:31], v[28:29]
	v_fma_f64 v[30:31], v[94:95], s[14:15], v[34:35]
	v_fma_f64 v[32:33], v[96:97], s[14:15], -v[36:37]
	v_fma_f64 v[34:35], v[94:95], s[14:15], -v[34:35]
	v_add_f64 v[24:25], v[24:25], v[22:23]
	v_fma_f64 v[22:23], v[2:3], s[14:15], -v[202:203]
	v_fma_f64 v[36:37], v[96:97], s[14:15], v[36:37]
	v_mul_f64 v[202:203], v[6:7], s[20:21]
	v_add_f64 v[30:31], v[30:31], v[45:46]
	v_add_f64 v[32:33], v[32:33], v[100:101]
	;; [unrolled: 1-line block ×6, first 2 shown]
	v_mul_f64 v[43:44], v[90:91], s[24:25]
	v_add_f64 v[34:35], v[41:42], v[34:35]
	s_delay_alu instid0(VALU_DEP_2) | instskip(SKIP_2) | instid1(VALU_DEP_3)
	v_fma_f64 v[45:46], v[88:89], s[16:17], -v[43:44]
	v_fma_f64 v[41:42], v[88:89], s[16:17], v[43:44]
	v_fma_f64 v[43:44], v[2:3], s[8:9], v[202:203]
	v_add_f64 v[32:33], v[45:46], v[32:33]
	v_mul_f64 v[45:46], v[38:39], s[40:41]
	s_delay_alu instid0(VALU_DEP_4) | instskip(NEXT) | instid1(VALU_DEP_2)
	v_add_f64 v[36:37], v[41:42], v[36:37]
	v_fma_f64 v[51:52], v[65:66], s[0:1], v[45:46]
	v_fma_f64 v[41:42], v[65:66], s[0:1], -v[45:46]
	v_mul_f64 v[45:46], v[92:93], s[34:35]
	s_delay_alu instid0(VALU_DEP_3) | instskip(SKIP_1) | instid1(VALU_DEP_4)
	v_add_f64 v[30:31], v[51:52], v[30:31]
	v_mul_f64 v[51:52], v[82:83], s[40:41]
	v_add_f64 v[34:35], v[41:42], v[34:35]
	s_delay_alu instid0(VALU_DEP_2) | instskip(SKIP_2) | instid1(VALU_DEP_3)
	v_fma_f64 v[53:54], v[80:81], s[0:1], -v[51:52]
	v_fma_f64 v[41:42], v[80:81], s[0:1], v[51:52]
	v_mul_f64 v[51:52], v[84:85], s[28:29]
	v_add_f64 v[32:33], v[53:54], v[32:33]
	v_mul_f64 v[53:54], v[12:13], s[28:29]
	s_delay_alu instid0(VALU_DEP_4) | instskip(NEXT) | instid1(VALU_DEP_2)
	v_add_f64 v[36:37], v[41:42], v[36:37]
	v_fma_f64 v[63:64], v[8:9], s[26:27], v[53:54]
	v_fma_f64 v[41:42], v[8:9], s[26:27], -v[53:54]
	v_fma_f64 v[53:54], v[86:87], s[26:27], v[51:52]
	v_fma_f64 v[51:52], v[86:87], s[26:27], -v[51:52]
	s_delay_alu instid0(VALU_DEP_4) | instskip(SKIP_2) | instid1(VALU_DEP_2)
	v_add_f64 v[30:31], v[63:64], v[30:31]
	v_mul_f64 v[63:64], v[14:15], s[28:29]
	v_add_f64 v[34:35], v[41:42], v[34:35]
	v_fma_f64 v[41:42], v[10:11], s[26:27], v[63:64]
	v_fma_f64 v[100:101], v[10:11], s[26:27], -v[63:64]
	s_delay_alu instid0(VALU_DEP_2) | instskip(SKIP_1) | instid1(VALU_DEP_3)
	v_add_f64 v[41:42], v[41:42], v[36:37]
	v_fma_f64 v[36:37], v[0:1], s[8:9], -v[200:201]
	v_add_f64 v[100:101], v[100:101], v[32:33]
	v_fma_f64 v[32:33], v[0:1], s[8:9], v[200:201]
	v_mul_f64 v[200:201], v[4:5], s[38:39]
	s_delay_alu instid0(VALU_DEP_4)
	v_add_f64 v[36:37], v[36:37], v[34:35]
	v_add_f64 v[34:35], v[43:44], v[41:42]
	v_fma_f64 v[41:42], v[94:95], s[2:3], v[45:46]
	v_fma_f64 v[45:46], v[94:95], s[2:3], -v[45:46]
	v_add_f64 v[32:33], v[32:33], v[30:31]
	v_fma_f64 v[30:31], v[2:3], s[8:9], -v[202:203]
	v_mul_f64 v[202:203], v[6:7], s[38:39]
	v_add_f64 v[41:42], v[41:42], v[47:48]
	v_mul_f64 v[47:48], v[98:99], s[34:35]
	v_add_f64 v[45:46], v[45:46], v[112:113]
	v_add_f64 v[30:31], v[30:31], v[100:101]
	s_delay_alu instid0(VALU_DEP_4) | instskip(NEXT) | instid1(VALU_DEP_4)
	v_add_f64 v[41:42], v[53:54], v[41:42]
	v_fma_f64 v[43:44], v[96:97], s[2:3], -v[47:48]
	v_mul_f64 v[53:54], v[90:91], s[28:29]
	v_fma_f64 v[47:48], v[96:97], s[2:3], v[47:48]
	v_add_f64 v[45:46], v[51:52], v[45:46]
	s_delay_alu instid0(VALU_DEP_4) | instskip(NEXT) | instid1(VALU_DEP_4)
	v_add_f64 v[43:44], v[43:44], v[102:103]
	v_fma_f64 v[55:56], v[88:89], s[26:27], -v[53:54]
	s_delay_alu instid0(VALU_DEP_4)
	v_add_f64 v[47:48], v[47:48], v[57:58]
	v_fma_f64 v[51:52], v[88:89], s[26:27], v[53:54]
	v_fma_f64 v[53:54], v[2:3], s[16:17], v[202:203]
	v_mul_f64 v[57:58], v[84:85], s[36:37]
	v_add_f64 v[43:44], v[55:56], v[43:44]
	v_mul_f64 v[55:56], v[38:39], s[22:23]
	v_add_f64 v[47:48], v[51:52], v[47:48]
	s_delay_alu instid0(VALU_DEP_2) | instskip(SKIP_2) | instid1(VALU_DEP_3)
	v_fma_f64 v[63:64], v[65:66], s[14:15], v[55:56]
	v_fma_f64 v[51:52], v[65:66], s[14:15], -v[55:56]
	v_mul_f64 v[55:56], v[98:99], s[12:13]
	v_add_f64 v[41:42], v[63:64], v[41:42]
	v_mul_f64 v[63:64], v[82:83], s[22:23]
	s_delay_alu instid0(VALU_DEP_4) | instskip(NEXT) | instid1(VALU_DEP_2)
	v_add_f64 v[45:46], v[51:52], v[45:46]
	v_fma_f64 v[100:101], v[80:81], s[14:15], -v[63:64]
	v_fma_f64 v[51:52], v[80:81], s[14:15], v[63:64]
	v_fma_f64 v[63:64], v[86:87], s[8:9], v[57:58]
	v_fma_f64 v[57:58], v[86:87], s[8:9], -v[57:58]
	s_delay_alu instid0(VALU_DEP_4) | instskip(SKIP_2) | instid1(VALU_DEP_2)
	v_add_f64 v[43:44], v[100:101], v[43:44]
	v_mul_f64 v[100:101], v[12:13], s[40:41]
	v_add_f64 v[47:48], v[51:52], v[47:48]
	v_fma_f64 v[102:103], v[8:9], s[0:1], v[100:101]
	v_fma_f64 v[51:52], v[8:9], s[0:1], -v[100:101]
	s_delay_alu instid0(VALU_DEP_2) | instskip(SKIP_1) | instid1(VALU_DEP_3)
	v_add_f64 v[41:42], v[102:103], v[41:42]
	v_mul_f64 v[102:103], v[14:15], s[40:41]
	v_add_f64 v[45:46], v[51:52], v[45:46]
	s_delay_alu instid0(VALU_DEP_2) | instskip(SKIP_1) | instid1(VALU_DEP_2)
	v_fma_f64 v[51:52], v[10:11], s[0:1], v[102:103]
	v_fma_f64 v[110:111], v[10:11], s[0:1], -v[102:103]
	v_add_f64 v[51:52], v[51:52], v[47:48]
	v_fma_f64 v[47:48], v[0:1], s[16:17], -v[200:201]
	s_delay_alu instid0(VALU_DEP_3) | instskip(SKIP_2) | instid1(VALU_DEP_4)
	v_add_f64 v[110:111], v[110:111], v[43:44]
	v_fma_f64 v[43:44], v[0:1], s[16:17], v[200:201]
	v_mul_f64 v[200:201], v[4:5], s[18:19]
	v_add_f64 v[47:48], v[47:48], v[45:46]
	v_add_f64 v[45:46], v[53:54], v[51:52]
	v_mul_f64 v[53:54], v[92:93], s[12:13]
	v_add_f64 v[43:44], v[43:44], v[41:42]
	v_fma_f64 v[41:42], v[2:3], s[16:17], -v[202:203]
	v_mul_f64 v[202:203], v[6:7], s[18:19]
	s_delay_alu instid0(VALU_DEP_4) | instskip(SKIP_1) | instid1(VALU_DEP_4)
	v_fma_f64 v[51:52], v[94:95], s[0:1], v[53:54]
	v_fma_f64 v[53:54], v[94:95], s[0:1], -v[53:54]
	v_add_f64 v[41:42], v[41:42], v[110:111]
	s_delay_alu instid0(VALU_DEP_3) | instskip(SKIP_1) | instid1(VALU_DEP_4)
	v_add_f64 v[49:50], v[51:52], v[49:50]
	v_fma_f64 v[51:52], v[96:97], s[0:1], -v[55:56]
	v_add_f64 v[53:54], v[53:54], v[114:115]
	v_fma_f64 v[55:56], v[96:97], s[0:1], v[55:56]
	s_delay_alu instid0(VALU_DEP_4) | instskip(SKIP_2) | instid1(VALU_DEP_4)
	v_add_f64 v[49:50], v[63:64], v[49:50]
	v_mul_f64 v[63:64], v[90:91], s[36:37]
	v_add_f64 v[51:52], v[51:52], v[104:105]
	v_add_f64 v[55:56], v[55:56], v[59:60]
	;; [unrolled: 1-line block ×3, first 2 shown]
	v_fma_f64 v[59:60], v[2:3], s[2:3], v[202:203]
	v_fma_f64 v[100:101], v[88:89], s[8:9], -v[63:64]
	v_fma_f64 v[57:58], v[88:89], s[8:9], v[63:64]
	v_mul_f64 v[63:64], v[92:93], s[20:21]
	v_mul_f64 v[92:93], v[92:93], s[24:25]
	s_delay_alu instid0(VALU_DEP_4) | instskip(SKIP_2) | instid1(VALU_DEP_2)
	v_add_f64 v[51:52], v[100:101], v[51:52]
	v_mul_f64 v[100:101], v[38:39], s[28:29]
	v_add_f64 v[55:56], v[57:58], v[55:56]
	v_fma_f64 v[102:103], v[65:66], s[26:27], v[100:101]
	v_fma_f64 v[57:58], v[65:66], s[26:27], -v[100:101]
	v_mul_f64 v[100:101], v[98:99], s[20:21]
	v_mul_f64 v[98:99], v[98:99], s[24:25]
	s_delay_alu instid0(VALU_DEP_4) | instskip(SKIP_2) | instid1(VALU_DEP_2)
	v_add_f64 v[49:50], v[102:103], v[49:50]
	v_mul_f64 v[102:103], v[82:83], s[28:29]
	v_add_f64 v[53:54], v[57:58], v[53:54]
	v_fma_f64 v[104:105], v[80:81], s[26:27], -v[102:103]
	v_fma_f64 v[57:58], v[80:81], s[26:27], v[102:103]
	v_mul_f64 v[102:103], v[84:85], s[12:13]
	v_mul_f64 v[84:85], v[84:85], s[22:23]
	s_delay_alu instid0(VALU_DEP_4) | instskip(SKIP_2) | instid1(VALU_DEP_2)
	v_add_f64 v[51:52], v[104:105], v[51:52]
	v_mul_f64 v[104:105], v[12:13], s[24:25]
	v_add_f64 v[55:56], v[57:58], v[55:56]
	v_fma_f64 v[110:111], v[8:9], s[16:17], v[104:105]
	v_fma_f64 v[57:58], v[8:9], s[16:17], -v[104:105]
	v_fma_f64 v[104:105], v[86:87], s[0:1], v[102:103]
	s_delay_alu instid0(VALU_DEP_3) | instskip(SKIP_1) | instid1(VALU_DEP_4)
	v_add_f64 v[49:50], v[110:111], v[49:50]
	v_mul_f64 v[110:111], v[14:15], s[24:25]
	v_add_f64 v[53:54], v[57:58], v[53:54]
	s_delay_alu instid0(VALU_DEP_2) | instskip(SKIP_1) | instid1(VALU_DEP_2)
	v_fma_f64 v[57:58], v[10:11], s[16:17], v[110:111]
	v_fma_f64 v[112:113], v[10:11], s[16:17], -v[110:111]
	v_add_f64 v[57:58], v[57:58], v[55:56]
	v_fma_f64 v[55:56], v[0:1], s[2:3], -v[200:201]
	s_delay_alu instid0(VALU_DEP_3) | instskip(SKIP_2) | instid1(VALU_DEP_4)
	v_add_f64 v[112:113], v[112:113], v[51:52]
	v_fma_f64 v[51:52], v[0:1], s[2:3], v[200:201]
	v_mul_f64 v[200:201], v[4:5], s[28:29]
	v_add_f64 v[55:56], v[55:56], v[53:54]
	v_add_f64 v[53:54], v[59:60], v[57:58]
	v_fma_f64 v[57:58], v[94:95], s[8:9], v[63:64]
	v_fma_f64 v[59:60], v[96:97], s[8:9], -v[100:101]
	v_fma_f64 v[63:64], v[94:95], s[8:9], -v[63:64]
	v_fma_f64 v[100:101], v[96:97], s[8:9], v[100:101]
	v_add_f64 v[51:52], v[51:52], v[49:50]
	v_fma_f64 v[49:50], v[2:3], s[2:3], -v[202:203]
	v_mul_f64 v[202:203], v[6:7], s[28:29]
	v_add_f64 v[57:58], v[57:58], v[169:170]
	v_add_f64 v[59:60], v[59:60], v[106:107]
	;; [unrolled: 1-line block ×4, first 2 shown]
	v_fma_f64 v[100:101], v[86:87], s[0:1], -v[102:103]
	v_add_f64 v[49:50], v[49:50], v[112:113]
	v_fma_f64 v[102:103], v[2:3], s[26:27], v[202:203]
	v_add_f64 v[57:58], v[104:105], v[57:58]
	v_mul_f64 v[104:105], v[90:91], s[12:13]
	v_mul_f64 v[90:91], v[90:91], s[22:23]
	v_add_f64 v[63:64], v[100:101], v[63:64]
	s_delay_alu instid0(VALU_DEP_3)
	v_fma_f64 v[106:107], v[88:89], s[0:1], -v[104:105]
	v_fma_f64 v[100:101], v[88:89], s[0:1], v[104:105]
	v_fma_f64 v[104:105], v[86:87], s[14:15], -v[84:85]
	v_fma_f64 v[84:85], v[86:87], s[14:15], v[84:85]
	v_fma_f64 v[86:87], v[88:89], s[14:15], -v[90:91]
	v_add_f64 v[59:60], v[106:107], v[59:60]
	v_mul_f64 v[106:107], v[38:39], s[34:35]
	v_add_f64 v[61:62], v[100:101], v[61:62]
	v_mul_f64 v[38:39], v[38:39], s[20:21]
	s_delay_alu instid0(VALU_DEP_3) | instskip(SKIP_2) | instid1(VALU_DEP_3)
	v_fma_f64 v[110:111], v[65:66], s[2:3], v[106:107]
	v_fma_f64 v[100:101], v[65:66], s[2:3], -v[106:107]
	v_mul_f64 v[106:107], v[6:7], s[12:13]
	v_add_f64 v[57:58], v[110:111], v[57:58]
	v_mul_f64 v[110:111], v[82:83], s[34:35]
	s_delay_alu instid0(VALU_DEP_4) | instskip(SKIP_1) | instid1(VALU_DEP_3)
	v_add_f64 v[63:64], v[100:101], v[63:64]
	v_mul_f64 v[82:83], v[82:83], s[20:21]
	v_fma_f64 v[112:113], v[80:81], s[2:3], -v[110:111]
	v_fma_f64 v[100:101], v[80:81], s[2:3], v[110:111]
	s_delay_alu instid0(VALU_DEP_2) | instskip(SKIP_1) | instid1(VALU_DEP_3)
	v_add_f64 v[59:60], v[112:113], v[59:60]
	v_mul_f64 v[112:113], v[12:13], s[30:31]
	v_add_f64 v[61:62], v[100:101], v[61:62]
	v_mul_f64 v[12:13], v[12:13], s[18:19]
	s_delay_alu instid0(VALU_DEP_3) | instskip(SKIP_1) | instid1(VALU_DEP_2)
	v_fma_f64 v[114:115], v[8:9], s[14:15], v[112:113]
	v_fma_f64 v[100:101], v[8:9], s[14:15], -v[112:113]
	v_add_f64 v[57:58], v[114:115], v[57:58]
	v_mul_f64 v[114:115], v[14:15], s[30:31]
	s_delay_alu instid0(VALU_DEP_3) | instskip(SKIP_1) | instid1(VALU_DEP_3)
	v_add_f64 v[63:64], v[100:101], v[63:64]
	v_mul_f64 v[14:15], v[14:15], s[18:19]
	v_fma_f64 v[100:101], v[10:11], s[14:15], v[114:115]
	v_fma_f64 v[169:170], v[10:11], s[14:15], -v[114:115]
	s_delay_alu instid0(VALU_DEP_2) | instskip(SKIP_1) | instid1(VALU_DEP_3)
	v_add_f64 v[61:62], v[100:101], v[61:62]
	v_fma_f64 v[100:101], v[0:1], s[26:27], -v[200:201]
	v_add_f64 v[169:170], v[169:170], v[59:60]
	v_fma_f64 v[59:60], v[0:1], s[26:27], v[200:201]
	s_delay_alu instid0(VALU_DEP_4) | instskip(NEXT) | instid1(VALU_DEP_4)
	v_add_f64 v[61:62], v[102:103], v[61:62]
	v_add_f64 v[63:64], v[100:101], v[63:64]
	v_fma_f64 v[100:101], v[94:95], s[16:17], -v[92:93]
	v_fma_f64 v[102:103], v[96:97], s[16:17], v[98:99]
	v_fma_f64 v[92:93], v[94:95], s[16:17], v[92:93]
	v_fma_f64 v[94:95], v[96:97], s[16:17], -v[98:99]
	v_add_f64 v[59:60], v[59:60], v[57:58]
	v_fma_f64 v[57:58], v[2:3], s[26:27], -v[202:203]
	v_add_f64 v[100:101], v[100:101], v[198:199]
	v_add_f64 v[102:103], v[102:103], v[196:197]
	s_delay_alu instid0(VALU_DEP_3) | instskip(NEXT) | instid1(VALU_DEP_3)
	v_add_f64 v[57:58], v[57:58], v[169:170]
	v_add_f64 v[100:101], v[104:105], v[100:101]
	v_fma_f64 v[104:105], v[88:89], s[14:15], v[90:91]
	v_add_f64 v[88:89], v[92:93], v[194:195]
	v_add_f64 v[90:91], v[94:95], v[108:109]
	s_delay_alu instid0(VALU_DEP_3) | instskip(SKIP_3) | instid1(VALU_DEP_3)
	v_add_f64 v[102:103], v[104:105], v[102:103]
	v_fma_f64 v[104:105], v[65:66], s[8:9], -v[38:39]
	v_fma_f64 v[38:39], v[65:66], s[8:9], v[38:39]
	v_fma_f64 v[65:66], v[80:81], s[8:9], -v[82:83]
	v_add_f64 v[100:101], v[104:105], v[100:101]
	v_fma_f64 v[104:105], v[80:81], s[8:9], v[82:83]
	v_add_f64 v[80:81], v[84:85], v[88:89]
	v_add_f64 v[82:83], v[86:87], v[90:91]
	s_delay_alu instid0(VALU_DEP_3) | instskip(SKIP_4) | instid1(VALU_DEP_4)
	v_add_f64 v[102:103], v[104:105], v[102:103]
	v_fma_f64 v[104:105], v[8:9], s[2:3], -v[12:13]
	v_fma_f64 v[8:9], v[8:9], s[2:3], v[12:13]
	v_add_f64 v[12:13], v[38:39], v[80:81]
	v_fma_f64 v[38:39], v[2:3], s[0:1], -v[106:107]
	v_add_f64 v[100:101], v[104:105], v[100:101]
	v_fma_f64 v[104:105], v[10:11], s[2:3], v[14:15]
	v_fma_f64 v[10:11], v[10:11], s[2:3], -v[14:15]
	v_add_f64 v[14:15], v[65:66], v[82:83]
	s_delay_alu instid0(VALU_DEP_3) | instskip(SKIP_1) | instid1(VALU_DEP_1)
	v_add_f64 v[102:103], v[104:105], v[102:103]
	v_mul_f64 v[104:105], v[4:5], s[12:13]
	v_fma_f64 v[4:5], v[0:1], s[0:1], -v[104:105]
	v_fma_f64 v[0:1], v[0:1], s[0:1], v[104:105]
	s_delay_alu instid0(VALU_DEP_2) | instskip(SKIP_3) | instid1(VALU_DEP_3)
	v_add_f64 v[6:7], v[4:5], v[100:101]
	v_fma_f64 v[4:5], v[2:3], s[0:1], v[106:107]
	v_add_f64 v[2:3], v[8:9], v[12:13]
	v_add_f64 v[8:9], v[10:11], v[14:15]
	;; [unrolled: 1-line block ×3, first 2 shown]
	s_delay_alu instid0(VALU_DEP_3) | instskip(NEXT) | instid1(VALU_DEP_3)
	v_add_f64 v[2:3], v[0:1], v[2:3]
	v_add_f64 v[0:1], v[38:39], v[8:9]
	s_clause 0x1
	scratch_load_b32 v8, off, off offset:312
	scratch_load_b32 v9, off, off offset:316
	s_waitcnt vmcnt(0)
	v_lshl_add_u32 v8, v9, 4, v8
	ds_store_b128 v8, v[4:7] offset:16
	ds_store_b128 v8, v[61:64] offset:32
	;; [unrolled: 1-line block ×11, first 2 shown]
	ds_store_b128 v8, v[16:19]
	ds_store_b128 v8, v[0:3] offset:192
.LBB0_13:
	s_or_b32 exec_lo, exec_lo, s33
	s_waitcnt lgkmcnt(0)
	s_barrier
	buffer_gl0_inv
	ds_load_b128 v[0:3], v168 offset:1456
	scratch_load_b128 v[26:29], off, off offset:384 ; 16-byte Folded Reload
	s_mov_b32 s0, 0xe8584caa
	s_mov_b32 s1, 0xbfebb67a
	;; [unrolled: 1-line block ×18, first 2 shown]
	s_waitcnt lgkmcnt(0)
	v_mul_f64 v[4:5], v[78:79], v[2:3]
	s_mov_b32 s16, 0x37c3f68c
	s_mov_b32 s17, 0xbfdc38aa
	s_delay_alu instid0(VALU_DEP_1) | instskip(SKIP_1) | instid1(VALU_DEP_1)
	v_fma_f64 v[4:5], v[76:77], v[0:1], v[4:5]
	v_mul_f64 v[0:1], v[78:79], v[0:1]
	v_fma_f64 v[6:7], v[76:77], v[2:3], -v[0:1]
	ds_load_b128 v[0:3], v168 offset:1664
	s_waitcnt lgkmcnt(0)
	v_mul_f64 v[8:9], v[78:79], v[2:3]
	s_delay_alu instid0(VALU_DEP_1) | instskip(SKIP_1) | instid1(VALU_DEP_1)
	v_fma_f64 v[16:17], v[76:77], v[0:1], v[8:9]
	v_mul_f64 v[0:1], v[78:79], v[0:1]
	v_fma_f64 v[18:19], v[76:77], v[2:3], -v[0:1]
	ds_load_b128 v[0:3], v168 offset:2912
	s_waitcnt lgkmcnt(0)
	v_mul_f64 v[8:9], v[74:75], v[2:3]
	;; [unrolled: 7-line block ×3, first 2 shown]
	v_add_f64 v[14:15], v[6:7], v[10:11]
	s_delay_alu instid0(VALU_DEP_2) | instskip(SKIP_1) | instid1(VALU_DEP_1)
	v_fma_f64 v[22:23], v[72:73], v[0:1], v[12:13]
	v_mul_f64 v[0:1], v[74:75], v[0:1]
	v_fma_f64 v[24:25], v[72:73], v[2:3], -v[0:1]
	ds_load_b128 v[0:3], v168 offset:1872
	s_waitcnt vmcnt(0) lgkmcnt(0)
	v_mul_f64 v[12:13], v[28:29], v[2:3]
	s_delay_alu instid0(VALU_DEP_1) | instskip(SKIP_1) | instid1(VALU_DEP_1)
	v_fma_f64 v[30:31], v[26:27], v[0:1], v[12:13]
	v_mul_f64 v[0:1], v[28:29], v[0:1]
	v_fma_f64 v[32:33], v[26:27], v[2:3], -v[0:1]
	scratch_load_b128 v[26:29], off, off offset:336 ; 16-byte Folded Reload
	ds_load_b128 v[0:3], v168 offset:3328
	s_waitcnt vmcnt(0) lgkmcnt(0)
	v_mul_f64 v[12:13], v[28:29], v[2:3]
	s_delay_alu instid0(VALU_DEP_1) | instskip(SKIP_1) | instid1(VALU_DEP_2)
	v_fma_f64 v[34:35], v[26:27], v[0:1], v[12:13]
	v_mul_f64 v[0:1], v[28:29], v[0:1]
	v_add_f64 v[41:42], v[30:31], v[34:35]
	s_delay_alu instid0(VALU_DEP_2)
	v_fma_f64 v[36:37], v[26:27], v[2:3], -v[0:1]
	scratch_load_b128 v[26:29], off, off offset:368 ; 16-byte Folded Reload
	ds_load_b128 v[0:3], v168 offset:2080
	v_add_f64 v[43:44], v[32:33], v[36:37]
	s_waitcnt vmcnt(0) lgkmcnt(0)
	v_mul_f64 v[12:13], v[28:29], v[2:3]
	s_delay_alu instid0(VALU_DEP_1) | instskip(SKIP_1) | instid1(VALU_DEP_1)
	v_fma_f64 v[38:39], v[26:27], v[0:1], v[12:13]
	v_mul_f64 v[0:1], v[28:29], v[0:1]
	v_fma_f64 v[57:58], v[26:27], v[2:3], -v[0:1]
	scratch_load_b128 v[26:29], off, off offset:352 ; 16-byte Folded Reload
	ds_load_b128 v[0:3], v168 offset:3536
	s_waitcnt vmcnt(0) lgkmcnt(0)
	v_mul_f64 v[12:13], v[28:29], v[2:3]
	s_delay_alu instid0(VALU_DEP_1) | instskip(SKIP_1) | instid1(VALU_DEP_1)
	v_fma_f64 v[59:60], v[26:27], v[0:1], v[12:13]
	v_mul_f64 v[0:1], v[28:29], v[0:1]
	v_fma_f64 v[61:62], v[26:27], v[2:3], -v[0:1]
	scratch_load_b128 v[26:29], off, off offset:400 ; 16-byte Folded Reload
	ds_load_b128 v[0:3], v168 offset:2288
	s_waitcnt vmcnt(0) lgkmcnt(0)
	v_mul_f64 v[12:13], v[28:29], v[2:3]
	s_delay_alu instid0(VALU_DEP_1) | instskip(SKIP_1) | instid1(VALU_DEP_1)
	v_fma_f64 v[63:64], v[26:27], v[0:1], v[12:13]
	v_mul_f64 v[0:1], v[28:29], v[0:1]
	v_fma_f64 v[65:66], v[26:27], v[2:3], -v[0:1]
	scratch_load_b128 v[26:29], off, off offset:416 ; 16-byte Folded Reload
	ds_load_b128 v[0:3], v168 offset:3744
	s_waitcnt vmcnt(0) lgkmcnt(0)
	v_mul_f64 v[12:13], v[28:29], v[2:3]
	s_delay_alu instid0(VALU_DEP_1) | instskip(SKIP_1) | instid1(VALU_DEP_1)
	v_fma_f64 v[72:73], v[26:27], v[0:1], v[12:13]
	v_mul_f64 v[0:1], v[28:29], v[0:1]
	v_fma_f64 v[74:75], v[26:27], v[2:3], -v[0:1]
	scratch_load_b128 v[26:29], off, off offset:432 ; 16-byte Folded Reload
	ds_load_b128 v[0:3], v168 offset:2496
	s_waitcnt vmcnt(0) lgkmcnt(0)
	v_mul_f64 v[12:13], v[28:29], v[2:3]
	s_delay_alu instid0(VALU_DEP_1) | instskip(SKIP_1) | instid1(VALU_DEP_1)
	v_fma_f64 v[76:77], v[26:27], v[0:1], v[12:13]
	v_mul_f64 v[0:1], v[28:29], v[0:1]
	v_fma_f64 v[78:79], v[26:27], v[2:3], -v[0:1]
	scratch_load_b128 v[26:29], off, off offset:448 ; 16-byte Folded Reload
	ds_load_b128 v[0:3], v168 offset:3952
	s_waitcnt vmcnt(0) lgkmcnt(0)
	v_mul_f64 v[12:13], v[28:29], v[2:3]
	s_delay_alu instid0(VALU_DEP_1) | instskip(SKIP_1) | instid1(VALU_DEP_1)
	v_fma_f64 v[80:81], v[26:27], v[0:1], v[12:13]
	v_mul_f64 v[0:1], v[28:29], v[0:1]
	v_fma_f64 v[82:83], v[26:27], v[2:3], -v[0:1]
	scratch_load_b128 v[26:29], off, off offset:320 ; 16-byte Folded Reload
	ds_load_b128 v[0:3], v168 offset:2704
	s_waitcnt vmcnt(0) lgkmcnt(0)
	v_mul_f64 v[12:13], v[28:29], v[2:3]
	s_delay_alu instid0(VALU_DEP_1) | instskip(SKIP_2) | instid1(VALU_DEP_2)
	v_fma_f64 v[84:85], v[26:27], v[0:1], v[12:13]
	v_mul_f64 v[0:1], v[28:29], v[0:1]
	v_add_f64 v[28:29], v[18:19], v[24:25]
	v_fma_f64 v[86:87], v[26:27], v[2:3], -v[0:1]
	ds_load_b128 v[0:3], v168 offset:4160
	v_add_f64 v[26:27], v[16:17], v[22:23]
	s_waitcnt lgkmcnt(0)
	v_mul_f64 v[12:13], v[130:131], v[2:3]
	s_delay_alu instid0(VALU_DEP_1) | instskip(SKIP_2) | instid1(VALU_DEP_2)
	v_fma_f64 v[88:89], v[128:129], v[0:1], v[12:13]
	v_mul_f64 v[0:1], v[130:131], v[0:1]
	v_add_f64 v[12:13], v[4:5], v[8:9]
	v_fma_f64 v[90:91], v[128:129], v[2:3], -v[0:1]
	ds_load_b128 v[0:3], v168
	s_waitcnt lgkmcnt(0)
	v_fma_f64 v[14:15], v[14:15], -0.5, v[2:3]
	v_add_f64 v[2:3], v[2:3], v[6:7]
	v_fma_f64 v[12:13], v[12:13], -0.5, v[0:1]
	v_add_f64 v[0:1], v[0:1], v[4:5]
	v_add_f64 v[6:7], v[6:7], -v[10:11]
	s_delay_alu instid0(VALU_DEP_4) | instskip(SKIP_1) | instid1(VALU_DEP_4)
	v_add_f64 v[2:3], v[2:3], v[10:11]
	v_add_f64 v[10:11], v[4:5], -v[8:9]
	v_add_f64 v[0:1], v[0:1], v[8:9]
	s_delay_alu instid0(VALU_DEP_4) | instskip(SKIP_1) | instid1(VALU_DEP_4)
	v_fma_f64 v[4:5], v[6:7], s[0:1], v[12:13]
	v_fma_f64 v[8:9], v[6:7], s[2:3], v[12:13]
	v_fma_f64 v[6:7], v[10:11], s[2:3], v[14:15]
	v_fma_f64 v[10:11], v[10:11], s[0:1], v[14:15]
	ds_load_b128 v[12:15], v168 offset:208
	s_waitcnt lgkmcnt(0)
	v_fma_f64 v[28:29], v[28:29], -0.5, v[14:15]
	v_add_f64 v[14:15], v[14:15], v[18:19]
	v_fma_f64 v[26:27], v[26:27], -0.5, v[12:13]
	v_add_f64 v[12:13], v[12:13], v[16:17]
	v_add_f64 v[18:19], v[18:19], -v[24:25]
	s_delay_alu instid0(VALU_DEP_4) | instskip(SKIP_1) | instid1(VALU_DEP_4)
	v_add_f64 v[14:15], v[14:15], v[24:25]
	v_add_f64 v[24:25], v[16:17], -v[22:23]
	v_add_f64 v[12:13], v[12:13], v[22:23]
	s_delay_alu instid0(VALU_DEP_4) | instskip(SKIP_1) | instid1(VALU_DEP_4)
	v_fma_f64 v[16:17], v[18:19], s[0:1], v[26:27]
	v_fma_f64 v[22:23], v[18:19], s[2:3], v[26:27]
	v_fma_f64 v[18:19], v[24:25], s[2:3], v[28:29]
	v_fma_f64 v[24:25], v[24:25], s[0:1], v[28:29]
	ds_load_b128 v[26:29], v168 offset:416
	;; [unrolled: 16-line block ×3, first 2 shown]
	ds_load_b128 v[45:48], v168 offset:624
	ds_load_b128 v[49:52], v168 offset:832
	;; [unrolled: 1-line block ×3, first 2 shown]
	s_waitcnt lgkmcnt(0)
	s_barrier
	buffer_gl0_inv
	ds_store_b128 v168, v[0:3]
	ds_store_b128 v168, v[12:15] offset:624
	ds_store_b128 v168, v[4:7] offset:208
	;; [unrolled: 1-line block ×5, first 2 shown]
	scratch_load_b32 v0, off, off offset:480 ; 4-byte Folded Reload
	v_add_f64 v[8:9], v[57:58], -v[61:62]
	v_add_f64 v[12:13], v[38:39], -v[59:60]
	s_waitcnt vmcnt(0)
	ds_store_b128 v0, v[26:29] offset:1248
	ds_store_b128 v0, v[30:33] offset:1456
	;; [unrolled: 1-line block ×3, first 2 shown]
	v_add_f64 v[0:1], v[38:39], v[59:60]
	v_add_f64 v[4:5], v[45:46], v[38:39]
	s_delay_alu instid0(VALU_DEP_2) | instskip(SKIP_1) | instid1(VALU_DEP_1)
	v_fma_f64 v[6:7], v[0:1], -0.5, v[45:46]
	v_add_f64 v[0:1], v[57:58], v[61:62]
	v_fma_f64 v[10:11], v[0:1], -0.5, v[47:48]
	v_add_f64 v[0:1], v[47:48], v[57:58]
	s_delay_alu instid0(VALU_DEP_1)
	v_add_f64 v[2:3], v[0:1], v[61:62]
	v_add_f64 v[0:1], v[4:5], v[59:60]
	v_fma_f64 v[4:5], v[8:9], s[0:1], v[6:7]
	v_fma_f64 v[8:9], v[8:9], s[2:3], v[6:7]
	;; [unrolled: 1-line block ×4, first 2 shown]
	scratch_load_b32 v12, off, off offset:472 ; 4-byte Folded Reload
	s_waitcnt vmcnt(0)
	ds_store_b128 v12, v[0:3] offset:1872
	ds_store_b128 v12, v[4:7] offset:2080
	;; [unrolled: 1-line block ×3, first 2 shown]
	v_add_f64 v[0:1], v[63:64], v[72:73]
	v_add_f64 v[4:5], v[49:50], v[63:64]
	v_add_f64 v[8:9], v[65:66], -v[74:75]
	v_add_f64 v[12:13], v[63:64], -v[72:73]
	s_delay_alu instid0(VALU_DEP_4) | instskip(SKIP_1) | instid1(VALU_DEP_1)
	v_fma_f64 v[6:7], v[0:1], -0.5, v[49:50]
	v_add_f64 v[0:1], v[65:66], v[74:75]
	v_fma_f64 v[10:11], v[0:1], -0.5, v[51:52]
	v_add_f64 v[0:1], v[51:52], v[65:66]
	s_delay_alu instid0(VALU_DEP_1)
	v_add_f64 v[2:3], v[0:1], v[74:75]
	v_add_f64 v[0:1], v[4:5], v[72:73]
	v_fma_f64 v[4:5], v[8:9], s[0:1], v[6:7]
	v_fma_f64 v[8:9], v[8:9], s[2:3], v[6:7]
	;; [unrolled: 1-line block ×4, first 2 shown]
	scratch_load_b32 v12, off, off offset:464 ; 4-byte Folded Reload
	s_waitcnt vmcnt(0)
	ds_store_b128 v12, v[0:3] offset:2496
	ds_store_b128 v12, v[4:7] offset:2704
	ds_store_b128 v12, v[8:11] offset:2912
	v_add_f64 v[0:1], v[76:77], v[80:81]
	v_add_f64 v[4:5], v[53:54], v[76:77]
	v_add_f64 v[8:9], v[78:79], -v[82:83]
	v_add_f64 v[12:13], v[76:77], -v[80:81]
	s_delay_alu instid0(VALU_DEP_4) | instskip(SKIP_1) | instid1(VALU_DEP_1)
	v_fma_f64 v[6:7], v[0:1], -0.5, v[53:54]
	v_add_f64 v[0:1], v[78:79], v[82:83]
	v_fma_f64 v[10:11], v[0:1], -0.5, v[55:56]
	v_add_f64 v[0:1], v[55:56], v[78:79]
	s_delay_alu instid0(VALU_DEP_1)
	v_add_f64 v[2:3], v[0:1], v[82:83]
	v_add_f64 v[0:1], v[4:5], v[80:81]
	v_fma_f64 v[4:5], v[8:9], s[0:1], v[6:7]
	v_fma_f64 v[8:9], v[8:9], s[2:3], v[6:7]
	;; [unrolled: 1-line block ×4, first 2 shown]
	ds_store_b128 v21, v[0:3] offset:3120
	ds_store_b128 v21, v[4:7] offset:3328
	;; [unrolled: 1-line block ×3, first 2 shown]
	v_add_f64 v[0:1], v[84:85], v[88:89]
	v_add_f64 v[4:5], v[41:42], v[84:85]
	v_add_f64 v[8:9], v[86:87], -v[90:91]
	v_add_f64 v[12:13], v[84:85], -v[88:89]
	s_delay_alu instid0(VALU_DEP_4) | instskip(SKIP_1) | instid1(VALU_DEP_1)
	v_fma_f64 v[6:7], v[0:1], -0.5, v[41:42]
	v_add_f64 v[0:1], v[86:87], v[90:91]
	v_fma_f64 v[10:11], v[0:1], -0.5, v[43:44]
	v_add_f64 v[0:1], v[43:44], v[86:87]
	s_delay_alu instid0(VALU_DEP_1)
	v_add_f64 v[2:3], v[0:1], v[90:91]
	v_add_f64 v[0:1], v[4:5], v[88:89]
	v_fma_f64 v[4:5], v[8:9], s[0:1], v[6:7]
	v_fma_f64 v[8:9], v[8:9], s[2:3], v[6:7]
	;; [unrolled: 1-line block ×4, first 2 shown]
	ds_store_b128 v20, v[0:3] offset:3744
	ds_store_b128 v20, v[4:7] offset:3952
	;; [unrolled: 1-line block ×3, first 2 shown]
	s_waitcnt lgkmcnt(0)
	s_barrier
	buffer_gl0_inv
	ds_load_b128 v[0:3], v168 offset:624
	s_mov_b32 s0, 0x36b3c0b5
	s_mov_b32 s2, 0x429ad128
	;; [unrolled: 1-line block ×4, first 2 shown]
	s_waitcnt lgkmcnt(0)
	v_mul_f64 v[4:5], v[118:119], v[2:3]
	s_delay_alu instid0(VALU_DEP_1) | instskip(SKIP_1) | instid1(VALU_DEP_1)
	v_fma_f64 v[22:23], v[116:117], v[0:1], v[4:5]
	v_mul_f64 v[0:1], v[118:119], v[0:1]
	v_fma_f64 v[52:53], v[116:117], v[2:3], -v[0:1]
	ds_load_b128 v[0:3], v168 offset:1248
	s_waitcnt lgkmcnt(0)
	v_mul_f64 v[4:5], v[146:147], v[2:3]
	s_delay_alu instid0(VALU_DEP_1) | instskip(SKIP_1) | instid1(VALU_DEP_1)
	v_fma_f64 v[54:55], v[144:145], v[0:1], v[4:5]
	v_mul_f64 v[0:1], v[146:147], v[0:1]
	v_fma_f64 v[56:57], v[144:145], v[2:3], -v[0:1]
	ds_load_b128 v[0:3], v168 offset:3120
	;; [unrolled: 7-line block ×10, first 2 shown]
	s_waitcnt lgkmcnt(0)
	v_mul_f64 v[24:25], v[174:175], v[2:3]
	s_delay_alu instid0(VALU_DEP_1) | instskip(SKIP_1) | instid1(VALU_DEP_2)
	v_fma_f64 v[49:50], v[172:173], v[0:1], v[24:25]
	v_mul_f64 v[0:1], v[174:175], v[0:1]
	v_add_f64 v[80:81], v[41:42], v[49:50]
	s_delay_alu instid0(VALU_DEP_2)
	v_fma_f64 v[66:67], v[172:173], v[2:3], -v[0:1]
	ds_load_b128 v[0:3], v168 offset:3536
	v_add_f64 v[49:50], v[41:42], -v[49:50]
	s_waitcnt lgkmcnt(0)
	v_mul_f64 v[24:25], v[178:179], v[2:3]
	v_add_f64 v[88:89], v[43:44], v[66:67]
	v_add_f64 v[66:67], v[43:44], -v[66:67]
	s_delay_alu instid0(VALU_DEP_3) | instskip(SKIP_1) | instid1(VALU_DEP_2)
	v_fma_f64 v[68:69], v[176:177], v[0:1], v[24:25]
	v_mul_f64 v[0:1], v[178:179], v[0:1]
	v_add_f64 v[82:83], v[45:46], v[68:69]
	s_delay_alu instid0(VALU_DEP_2)
	v_fma_f64 v[70:71], v[176:177], v[2:3], -v[0:1]
	ds_load_b128 v[0:3], v168 offset:1872
	v_add_f64 v[45:46], v[45:46], -v[68:69]
	s_waitcnt lgkmcnt(0)
	v_mul_f64 v[24:25], v[182:183], v[2:3]
	v_add_f64 v[90:91], v[47:48], v[70:71]
	v_add_f64 v[41:42], v[47:48], -v[70:71]
	s_delay_alu instid0(VALU_DEP_3) | instskip(SKIP_1) | instid1(VALU_DEP_3)
	v_fma_f64 v[34:35], v[180:181], v[0:1], v[24:25]
	v_mul_f64 v[0:1], v[182:183], v[0:1]
	v_add_f64 v[96:97], v[41:42], -v[66:67]
	s_delay_alu instid0(VALU_DEP_2) | instskip(SKIP_3) | instid1(VALU_DEP_1)
	v_fma_f64 v[32:33], v[180:181], v[2:3], -v[0:1]
	ds_load_b128 v[0:3], v168 offset:2496
	s_waitcnt lgkmcnt(0)
	v_mul_f64 v[24:25], v[186:187], v[2:3]
	v_fma_f64 v[38:39], v[184:185], v[0:1], v[24:25]
	v_mul_f64 v[0:1], v[186:187], v[0:1]
	s_delay_alu instid0(VALU_DEP_1) | instskip(SKIP_3) | instid1(VALU_DEP_1)
	v_fma_f64 v[36:37], v[184:185], v[2:3], -v[0:1]
	ds_load_b128 v[0:3], v168 offset:2080
	s_waitcnt lgkmcnt(0)
	v_mul_f64 v[24:25], v[134:135], v[2:3]
	v_fma_f64 v[26:27], v[132:133], v[0:1], v[24:25]
	v_mul_f64 v[0:1], v[134:135], v[0:1]
	s_delay_alu instid0(VALU_DEP_1) | instskip(SKIP_3) | instid1(VALU_DEP_1)
	;; [unrolled: 7-line block ×4, first 2 shown]
	v_fma_f64 v[74:75], v[120:121], v[2:3], -v[0:1]
	ds_load_b128 v[0:3], v168 offset:2912
	s_waitcnt lgkmcnt(0)
	v_mul_f64 v[76:77], v[126:127], v[2:3]
	v_fma_f64 v[76:77], v[124:125], v[0:1], v[76:77]
	v_mul_f64 v[0:1], v[126:127], v[0:1]
	s_delay_alu instid0(VALU_DEP_2) | instskip(NEXT) | instid1(VALU_DEP_2)
	v_add_f64 v[84:85], v[72:73], v[76:77]
	v_fma_f64 v[78:79], v[124:125], v[2:3], -v[0:1]
	v_add_f64 v[0:1], v[82:83], v[80:81]
	v_add_f64 v[68:69], v[76:77], -v[72:73]
	v_add_f64 v[72:73], v[82:83], -v[80:81]
	v_add_f64 v[76:77], v[90:91], -v[88:89]
	v_add_f64 v[80:81], v[80:81], -v[84:85]
	v_add_f64 v[92:93], v[74:75], v[78:79]
	v_add_f64 v[86:87], v[84:85], v[0:1]
	;; [unrolled: 1-line block ×3, first 2 shown]
	v_add_f64 v[70:71], v[78:79], -v[74:75]
	v_add_f64 v[43:44], v[68:69], -v[45:46]
	;; [unrolled: 1-line block ×4, first 2 shown]
	v_add_f64 v[45:46], v[68:69], v[45:46]
	v_mul_f64 v[80:81], v[80:81], s[20:21]
	v_add_f64 v[78:79], v[92:93], -v[90:91]
	v_add_f64 v[84:85], v[88:89], -v[92:93]
	v_add_f64 v[94:95], v[92:93], v[0:1]
	v_add_f64 v[90:91], v[70:71], v[41:42]
	v_mul_f64 v[98:99], v[43:44], s[14:15]
	ds_load_b128 v[0:3], v168 offset:416
	v_add_f64 v[47:48], v[70:71], -v[41:42]
	v_add_f64 v[102:103], v[45:46], v[49:50]
	v_mul_f64 v[41:42], v[74:75], s[0:1]
	v_add_f64 v[49:50], v[49:50], -v[68:69]
	v_add_f64 v[88:89], v[66:67], -v[70:71]
	v_mul_f64 v[68:69], v[96:97], s[2:3]
	s_waitcnt lgkmcnt(0)
	v_add_f64 v[0:1], v[0:1], v[86:87]
	v_fma_f64 v[70:71], v[72:73], s[22:23], -v[80:81]
	v_mul_f64 v[43:44], v[78:79], s[0:1]
	v_fma_f64 v[74:75], v[74:75], s[0:1], v[80:81]
	v_add_f64 v[2:3], v[2:3], v[94:95]
	v_add_f64 v[90:91], v[90:91], v[66:67]
	v_fma_f64 v[45:46], v[82:83], s[2:3], -v[98:99]
	v_mul_f64 v[66:67], v[82:83], s[2:3]
	v_mul_f64 v[82:83], v[84:85], s[20:21]
	v_mul_f64 v[100:101], v[47:48], s[14:15]
	v_fma_f64 v[41:42], v[72:73], s[12:13], -v[41:42]
	v_fma_f64 v[68:69], v[88:89], s[24:25], -v[68:69]
	v_fma_f64 v[86:87], v[86:87], s[8:9], v[0:1]
	v_fma_f64 v[43:44], v[76:77], s[12:13], -v[43:44]
	v_fma_f64 v[94:95], v[94:95], s[8:9], v[2:3]
	v_fma_f64 v[47:48], v[102:103], s[16:17], v[45:46]
	v_fma_f64 v[66:67], v[49:50], s[24:25], -v[66:67]
	v_fma_f64 v[72:73], v[76:77], s[22:23], -v[82:83]
	v_fma_f64 v[49:50], v[49:50], s[18:19], v[98:99]
	v_fma_f64 v[78:79], v[78:79], s[0:1], v[82:83]
	v_fma_f64 v[45:46], v[96:97], s[2:3], -v[100:101]
	v_fma_f64 v[84:85], v[90:91], s[16:17], v[68:69]
	v_add_f64 v[70:71], v[70:71], v[86:87]
	v_add_f64 v[82:83], v[74:75], v[86:87]
	;; [unrolled: 1-line block ×4, first 2 shown]
	v_add_f64 v[14:15], v[6:7], -v[14:15]
	v_add_f64 v[106:107], v[43:44], v[94:95]
	v_fma_f64 v[76:77], v[102:103], s[16:17], v[66:67]
	v_add_f64 v[72:73], v[72:73], v[94:95]
	v_fma_f64 v[49:50], v[102:103], s[16:17], v[49:50]
	v_fma_f64 v[45:46], v[90:91], s[16:17], v[45:46]
	v_add_f64 v[66:67], v[84:85], v[70:71]
	v_add_f64 v[70:71], v[70:71], -v[84:85]
	v_add_f64 v[84:85], v[78:79], v[94:95]
	v_add_f64 v[43:44], v[47:48], v[106:107]
	v_add_f64 v[47:48], v[106:107], -v[47:48]
	v_add_f64 v[68:69], v[72:73], -v[76:77]
	v_add_f64 v[72:73], v[76:77], v[72:73]
	v_fma_f64 v[76:77], v[88:89], s[18:19], v[100:101]
	v_add_f64 v[41:42], v[104:105], -v[45:46]
	v_add_f64 v[45:46], v[45:46], v[104:105]
	v_add_f64 v[88:89], v[10:11], v[18:19]
	v_add_f64 v[10:11], v[10:11], -v[18:19]
	v_add_f64 v[18:19], v[28:29], -v[24:25]
	v_fma_f64 v[80:81], v[90:91], s[16:17], v[76:77]
	v_add_f64 v[76:77], v[84:85], -v[49:50]
	v_add_f64 v[90:91], v[24:25], v[28:29]
	s_delay_alu instid0(VALU_DEP_3)
	v_add_f64 v[74:75], v[80:81], v[82:83]
	v_add_f64 v[78:79], v[82:83], -v[80:81]
	v_add_f64 v[80:81], v[49:50], v[84:85]
	ds_store_b128 v40, v[74:77] offset:624
	ds_store_b128 v40, v[66:69] offset:1248
	;; [unrolled: 1-line block ×6, first 2 shown]
	v_add_f64 v[48:49], v[22:23], v[62:63]
	v_add_f64 v[50:51], v[54:55], v[58:59]
	;; [unrolled: 1-line block ×7, first 2 shown]
	v_add_f64 v[54:55], v[54:55], -v[58:59]
	v_add_f64 v[58:59], v[38:39], -v[34:35]
	v_add_f64 v[74:75], v[32:33], v[36:37]
	v_add_f64 v[82:83], v[26:27], v[30:31]
	v_add_f64 v[34:35], v[56:57], -v[60:61]
	v_add_f64 v[22:23], v[22:23], -v[62:63]
	;; [unrolled: 1-line block ×9, first 2 shown]
	v_add_f64 v[40:41], v[50:51], v[48:49]
	v_add_f64 v[60:61], v[50:51], -v[48:49]
	v_add_f64 v[62:63], v[66:67], -v[50:51]
	;; [unrolled: 1-line block ×4, first 2 shown]
	v_add_f64 v[44:45], v[80:81], v[78:79]
	v_add_f64 v[36:37], v[58:59], -v[54:55]
	v_add_f64 v[64:65], v[74:75], -v[72:73]
	v_add_f64 v[32:33], v[58:59], v[54:55]
	v_add_f64 v[24:25], v[82:83], -v[80:81]
	v_add_f64 v[54:55], v[54:55], -v[22:23]
	;; [unrolled: 1-line block ×5, first 2 shown]
	v_add_f64 v[4:5], v[16:17], v[8:9]
	v_add_f64 v[30:31], v[8:9], -v[12:13]
	v_add_f64 v[8:9], v[18:19], -v[10:11]
	v_add_f64 v[68:69], v[66:67], v[40:41]
	v_add_f64 v[40:41], v[72:73], v[70:71]
	;; [unrolled: 1-line block ×3, first 2 shown]
	v_add_f64 v[66:67], v[70:71], -v[74:75]
	v_add_f64 v[56:57], v[52:53], -v[56:57]
	v_add_f64 v[84:85], v[82:83], v[44:45]
	v_add_f64 v[44:45], v[88:89], v[86:87]
	v_mul_f64 v[96:97], v[36:37], s[14:15]
	v_mul_f64 v[34:35], v[64:65], s[0:1]
	v_add_f64 v[100:101], v[32:33], v[22:23]
	v_add_f64 v[22:23], v[22:23], -v[58:59]
	v_mul_f64 v[58:59], v[48:49], s[20:21]
	v_mul_f64 v[32:33], v[62:63], s[0:1]
	;; [unrolled: 1-line block ×3, first 2 shown]
	v_add_f64 v[76:77], v[74:75], v[40:41]
	ds_load_b128 v[40:43], v168
	v_add_f64 v[72:73], v[72:73], v[52:53]
	v_mul_f64 v[52:53], v[54:55], s[2:3]
	v_mul_f64 v[66:67], v[66:67], s[20:21]
	v_add_f64 v[92:93], v[90:91], v[44:45]
	ds_load_b128 v[44:47], v168 offset:208
	v_fma_f64 v[36:37], v[54:55], s[2:3], -v[96:97]
	v_mul_f64 v[54:55], v[94:95], s[2:3]
	v_fma_f64 v[34:35], v[50:51], s[12:13], -v[34:35]
	v_fma_f64 v[32:33], v[60:61], s[12:13], -v[32:33]
	s_waitcnt lgkmcnt(1)
	v_add_f64 v[40:41], v[40:41], v[68:69]
	s_waitcnt lgkmcnt(0)
	v_add_f64 v[44:45], v[44:45], v[84:85]
	v_add_f64 v[42:43], v[42:43], v[76:77]
	v_fma_f64 v[48:49], v[22:23], s[24:25], -v[52:53]
	v_fma_f64 v[50:51], v[50:51], s[22:23], -v[66:67]
	v_fma_f64 v[22:23], v[22:23], s[18:19], v[96:97]
	v_add_f64 v[46:47], v[46:47], v[92:93]
	v_fma_f64 v[38:39], v[100:101], s[16:17], v[36:37]
	v_fma_f64 v[52:53], v[56:57], s[24:25], -v[54:55]
	v_fma_f64 v[54:55], v[60:61], s[22:23], -v[58:59]
	v_fma_f64 v[56:57], v[56:57], s[18:19], v[98:99]
	v_fma_f64 v[58:59], v[62:63], s[0:1], v[58:59]
	v_fma_f64 v[36:37], v[94:95], s[2:3], -v[98:99]
	v_fma_f64 v[68:69], v[68:69], s[8:9], v[40:41]
	v_fma_f64 v[74:75], v[84:85], s[8:9], v[44:45]
	;; [unrolled: 1-line block ×8, first 2 shown]
	v_add_f64 v[72:73], v[4:5], v[12:13]
	v_mul_f64 v[4:5], v[24:25], s[0:1]
	v_add_f64 v[54:55], v[54:55], v[68:69]
	v_add_f64 v[102:103], v[32:33], v[68:69]
	;; [unrolled: 1-line block ×4, first 2 shown]
	s_delay_alu instid0(VALU_DEP_4)
	v_add_f64 v[48:49], v[52:53], v[54:55]
	v_add_f64 v[52:53], v[54:55], -v[52:53]
	v_add_f64 v[32:33], v[102:103], -v[36:37]
	v_add_f64 v[36:37], v[36:37], v[102:103]
	v_add_f64 v[50:51], v[70:71], -v[60:61]
	v_add_f64 v[54:55], v[60:61], v[70:71]
	v_fma_f64 v[60:61], v[64:65], s[0:1], v[66:67]
	v_add_f64 v[64:65], v[58:59], v[68:69]
	v_mul_f64 v[68:69], v[6:7], s[14:15]
	v_mul_f64 v[70:71], v[8:9], s[14:15]
	;; [unrolled: 1-line block ×3, first 2 shown]
	v_add_f64 v[34:35], v[38:39], v[104:105]
	v_add_f64 v[38:39], v[104:105], -v[38:39]
	v_add_f64 v[66:67], v[60:61], v[76:77]
	v_add_f64 v[56:57], v[62:63], v[64:65]
	v_add_f64 v[60:61], v[64:65], -v[62:63]
	v_add_f64 v[64:65], v[18:19], v[10:11]
	v_fma_f64 v[8:9], v[30:31], s[2:3], -v[68:69]
	v_fma_f64 v[6:7], v[26:27], s[12:13], -v[6:7]
	v_fma_f64 v[76:77], v[92:93], s[8:9], v[46:47]
	v_add_f64 v[58:59], v[66:67], -v[22:23]
	v_add_f64 v[62:63], v[22:23], v[66:67]
	v_add_f64 v[22:23], v[80:81], -v[78:79]
	v_add_f64 v[66:67], v[10:11], -v[14:15]
	v_add_f64 v[64:65], v[64:65], v[14:15]
	v_fma_f64 v[10:11], v[72:73], s[16:17], v[8:9]
	v_add_f64 v[84:85], v[6:7], v[76:77]
	v_add_f64 v[78:79], v[78:79], -v[82:83]
	v_add_f64 v[82:83], v[12:13], -v[16:17]
	v_mul_f64 v[12:13], v[30:31], s[2:3]
	v_fma_f64 v[4:5], v[22:23], s[12:13], -v[4:5]
	v_fma_f64 v[8:9], v[66:67], s[2:3], -v[70:71]
	v_add_f64 v[6:7], v[10:11], v[84:85]
	v_add_f64 v[10:11], v[84:85], -v[10:11]
	v_add_f64 v[84:85], v[14:15], -v[18:19]
	v_mul_f64 v[14:15], v[66:67], s[2:3]
	v_mul_f64 v[30:31], v[78:79], s[20:21]
	v_fma_f64 v[12:13], v[82:83], s[24:25], -v[12:13]
	s_mov_b32 s2, 0x1e01e01e
	s_mov_b32 s3, 0x3f6e01e0
	v_add_f64 v[80:81], v[4:5], v[74:75]
	v_fma_f64 v[8:9], v[64:65], s[16:17], v[8:9]
	v_fma_f64 v[14:15], v[84:85], s[24:25], -v[14:15]
	v_fma_f64 v[16:17], v[22:23], s[22:23], -v[30:31]
	v_fma_f64 v[22:23], v[72:73], s[16:17], v[12:13]
	v_fma_f64 v[24:25], v[24:25], s[0:1], v[30:31]
	v_add_f64 v[4:5], v[80:81], -v[8:9]
	v_add_f64 v[8:9], v[8:9], v[80:81]
	v_add_f64 v[80:81], v[86:87], -v[90:91]
	v_add_f64 v[16:17], v[16:17], v[74:75]
	s_delay_alu instid0(VALU_DEP_2) | instskip(NEXT) | instid1(VALU_DEP_1)
	v_mul_f64 v[66:67], v[80:81], s[20:21]
	v_fma_f64 v[18:19], v[26:27], s[22:23], -v[66:67]
	v_fma_f64 v[26:27], v[64:65], s[16:17], v[14:15]
	v_fma_f64 v[28:29], v[28:29], s[0:1], v[66:67]
	s_mul_i32 s1, s5, 21
	s_delay_alu instid0(VALU_DEP_3) | instskip(NEXT) | instid1(VALU_DEP_3)
	v_add_f64 v[18:19], v[18:19], v[76:77]
	v_add_f64 v[12:13], v[26:27], v[16:17]
	v_add_f64 v[16:17], v[16:17], -v[26:27]
	v_fma_f64 v[26:27], v[84:85], s[18:19], v[70:71]
	v_add_f64 v[28:29], v[28:29], v[76:77]
	v_add_f64 v[14:15], v[18:19], -v[22:23]
	v_add_f64 v[18:19], v[22:23], v[18:19]
	v_fma_f64 v[22:23], v[82:83], s[18:19], v[68:69]
	v_fma_f64 v[26:27], v[64:65], s[16:17], v[26:27]
	v_add_f64 v[64:65], v[24:25], v[74:75]
	s_delay_alu instid0(VALU_DEP_3) | instskip(NEXT) | instid1(VALU_DEP_2)
	v_fma_f64 v[30:31], v[72:73], s[16:17], v[22:23]
	v_add_f64 v[22:23], v[26:27], v[64:65]
	v_add_f64 v[26:27], v[64:65], -v[26:27]
	s_delay_alu instid0(VALU_DEP_3)
	v_add_f64 v[24:25], v[28:29], -v[30:31]
	v_add_f64 v[28:29], v[30:31], v[28:29]
	ds_store_b128 v168, v[40:43]
	ds_store_b128 v168, v[44:47] offset:208
	ds_store_b128 v168, v[48:51] offset:1248
	;; [unrolled: 1-line block ×14, first 2 shown]
	s_waitcnt lgkmcnt(0)
	s_barrier
	buffer_gl0_inv
	s_clause 0x3
	scratch_load_b128 v[6:9], off, off offset:120
	scratch_load_b128 v[14:17], off, off offset:104
	;; [unrolled: 1-line block ×4, first 2 shown]
	ds_load_b128 v[0:3], v168
	s_clause 0x8
	scratch_load_b128 v[32:35], off, off offset:200
	scratch_load_b128 v[36:39], off, off offset:216
	;; [unrolled: 1-line block ×8, first 2 shown]
	scratch_load_b32 v60, off, off
	s_waitcnt vmcnt(12) lgkmcnt(0)
	v_mul_f64 v[4:5], v[8:9], v[2:3]
	s_delay_alu instid0(VALU_DEP_1) | instskip(SKIP_1) | instid1(VALU_DEP_1)
	v_fma_f64 v[4:5], v[6:7], v[0:1], v[4:5]
	v_mul_f64 v[0:1], v[8:9], v[0:1]
	v_fma_f64 v[6:7], v[6:7], v[2:3], -v[0:1]
	ds_load_b128 v[0:3], v168 offset:336
	s_waitcnt vmcnt(10) lgkmcnt(0)
	v_mul_f64 v[8:9], v[12:13], v[2:3]
	v_mul_f64 v[6:7], v[6:7], s[2:3]
	s_delay_alu instid0(VALU_DEP_2) | instskip(SKIP_1) | instid1(VALU_DEP_1)
	v_fma_f64 v[8:9], v[10:11], v[0:1], v[8:9]
	v_mul_f64 v[0:1], v[12:13], v[0:1]
	v_fma_f64 v[10:11], v[10:11], v[2:3], -v[0:1]
	ds_load_b128 v[0:3], v168 offset:672
	s_waitcnt lgkmcnt(0)
	v_mul_f64 v[12:13], v[16:17], v[2:3]
	s_delay_alu instid0(VALU_DEP_1) | instskip(SKIP_1) | instid1(VALU_DEP_1)
	v_fma_f64 v[12:13], v[14:15], v[0:1], v[12:13]
	v_mul_f64 v[0:1], v[16:17], v[0:1]
	v_fma_f64 v[14:15], v[14:15], v[2:3], -v[0:1]
	ds_load_b128 v[0:3], v168 offset:1008
	s_waitcnt vmcnt(9) lgkmcnt(0)
	v_mul_f64 v[16:17], v[24:25], v[2:3]
	s_delay_alu instid0(VALU_DEP_1)
	v_fma_f64 v[16:17], v[22:23], v[0:1], v[16:17]
	v_mul_f64 v[0:1], v[24:25], v[0:1]
	scratch_load_b128 v[24:27], off, off offset:168 ; 16-byte Folded Reload
	v_fma_f64 v[18:19], v[22:23], v[2:3], -v[0:1]
	ds_load_b128 v[0:3], v168 offset:1344
	s_waitcnt vmcnt(0) lgkmcnt(0)
	v_mul_f64 v[22:23], v[26:27], v[2:3]
	s_delay_alu instid0(VALU_DEP_1) | instskip(SKIP_1) | instid1(VALU_DEP_1)
	v_fma_f64 v[22:23], v[24:25], v[0:1], v[22:23]
	v_mul_f64 v[0:1], v[26:27], v[0:1]
	v_fma_f64 v[24:25], v[24:25], v[2:3], -v[0:1]
	ds_load_b128 v[0:3], v168 offset:1680
	s_waitcnt lgkmcnt(0)
	v_mul_f64 v[26:27], v[30:31], v[2:3]
	s_delay_alu instid0(VALU_DEP_1) | instskip(SKIP_1) | instid1(VALU_DEP_1)
	v_fma_f64 v[26:27], v[28:29], v[0:1], v[26:27]
	v_mul_f64 v[0:1], v[30:31], v[0:1]
	v_fma_f64 v[28:29], v[28:29], v[2:3], -v[0:1]
	ds_load_b128 v[0:3], v168 offset:2016
	s_waitcnt lgkmcnt(0)
	;; [unrolled: 7-line block ×8, first 2 shown]
	v_mul_f64 v[54:55], v[58:59], v[2:3]
	s_delay_alu instid0(VALU_DEP_1) | instskip(SKIP_1) | instid1(VALU_DEP_1)
	v_fma_f64 v[54:55], v[56:57], v[0:1], v[54:55]
	v_mul_f64 v[0:1], v[58:59], v[0:1]
	v_fma_f64 v[0:1], v[56:57], v[2:3], -v[0:1]
	scratch_load_b64 v[2:3], off, off offset:92 ; 8-byte Folded Reload
	s_waitcnt vmcnt(0)
	v_mov_b32_e32 v58, v2
	s_delay_alu instid0(VALU_DEP_1) | instskip(SKIP_1) | instid1(SALU_CYCLE_1)
	v_mad_u64_u32 v[2:3], null, s6, v58, 0
	s_mul_hi_u32 s6, s4, 21
	s_add_i32 s1, s6, s1
	s_delay_alu instid0(VALU_DEP_1) | instskip(SKIP_1) | instid1(VALU_DEP_2)
	v_mad_u64_u32 v[56:57], null, s7, v58, v[3:4]
	v_mul_f64 v[4:5], v[4:5], s[2:3]
	v_mov_b32_e32 v3, v56
	v_mad_u64_u32 v[56:57], null, s4, v60, 0
	s_delay_alu instid0(VALU_DEP_2) | instskip(NEXT) | instid1(VALU_DEP_2)
	v_lshlrev_b64 v[2:3], 4, v[2:3]
	v_mad_u64_u32 v[58:59], null, s5, v60, v[57:58]
	s_delay_alu instid0(VALU_DEP_2) | instskip(NEXT) | instid1(VALU_DEP_1)
	v_add_co_u32 v2, s0, s10, v2
	v_add_co_ci_u32_e64 v3, s0, s11, v3, s0
	s_delay_alu instid0(VALU_DEP_3) | instskip(NEXT) | instid1(VALU_DEP_1)
	v_mov_b32_e32 v57, v58
	v_lshlrev_b64 v[56:57], 4, v[56:57]
	s_delay_alu instid0(VALU_DEP_1) | instskip(NEXT) | instid1(VALU_DEP_1)
	v_add_co_u32 v56, s0, v2, v56
	v_add_co_ci_u32_e64 v57, s0, v3, v57, s0
	s_mul_i32 s0, s4, 21
	s_delay_alu instid0(SALU_CYCLE_1) | instskip(SKIP_4) | instid1(VALU_DEP_1)
	s_lshl_b64 s[6:7], s[0:1], 4
	global_store_b128 v[56:57], v[4:7], off
	v_mul_f64 v[4:5], v[8:9], s[2:3]
	v_mul_f64 v[6:7], v[10:11], s[2:3]
	v_add_co_u32 v8, s0, v56, s6
	v_add_co_ci_u32_e64 v9, s0, s7, v57, s0
	v_mul_f64 v[10:11], v[32:33], s[2:3]
	v_mul_f64 v[32:33], v[52:53], s[2:3]
	global_store_b128 v[8:9], v[4:7], off
	v_mul_f64 v[4:5], v[12:13], s[2:3]
	v_mul_f64 v[6:7], v[14:15], s[2:3]
	v_add_co_u32 v8, s0, v8, s6
	s_delay_alu instid0(VALU_DEP_1)
	v_add_co_ci_u32_e64 v9, s0, s7, v9, s0
	v_mul_f64 v[14:15], v[36:37], s[2:3]
	v_mul_f64 v[36:37], v[0:1], s[2:3]
	global_store_b128 v[8:9], v[4:7], off
	v_mul_f64 v[4:5], v[16:17], s[2:3]
	v_mul_f64 v[6:7], v[18:19], s[2:3]
	v_add_co_u32 v8, s0, v8, s6
	s_delay_alu instid0(VALU_DEP_1) | instskip(SKIP_1) | instid1(VALU_DEP_3)
	v_add_co_ci_u32_e64 v9, s0, s7, v9, s0
	v_mul_f64 v[16:17], v[38:39], s[2:3]
	v_add_co_u32 v12, s0, v8, s6
	s_delay_alu instid0(VALU_DEP_1) | instskip(SKIP_1) | instid1(VALU_DEP_3)
	v_add_co_ci_u32_e64 v13, s0, s7, v9, s0
	v_mul_f64 v[18:19], v[40:41], s[2:3]
	v_add_co_u32 v56, s0, v12, s6
	s_delay_alu instid0(VALU_DEP_1) | instskip(NEXT) | instid1(VALU_DEP_2)
	v_add_co_ci_u32_e64 v57, s0, s7, v13, s0
	v_add_co_u32 v0, s0, v56, s6
	s_delay_alu instid0(VALU_DEP_1)
	v_add_co_ci_u32_e64 v1, s0, s7, v57, s0
	global_store_b128 v[8:9], v[4:7], off
	v_mul_f64 v[4:5], v[22:23], s[2:3]
	v_mul_f64 v[6:7], v[24:25], s[2:3]
	;; [unrolled: 1-line block ×6, first 2 shown]
	global_store_b128 v[12:13], v[4:7], off
	v_mul_f64 v[4:5], v[26:27], s[2:3]
	v_mul_f64 v[6:7], v[28:29], s[2:3]
	;; [unrolled: 1-line block ×6, first 2 shown]
	global_store_b128 v[56:57], v[4:7], off
	v_add_co_u32 v4, s0, v0, s6
	s_delay_alu instid0(VALU_DEP_1) | instskip(SKIP_2) | instid1(VALU_DEP_1)
	v_add_co_ci_u32_e64 v5, s0, s7, v1, s0
	global_store_b128 v[0:1], v[8:11], off
	v_add_co_u32 v6, s0, v4, s6
	v_add_co_ci_u32_e64 v7, s0, s7, v5, s0
	global_store_b128 v[4:5], v[12:15], off
	v_add_co_u32 v8, s0, v6, s6
	s_delay_alu instid0(VALU_DEP_1) | instskip(NEXT) | instid1(VALU_DEP_2)
	v_add_co_ci_u32_e64 v9, s0, s7, v7, s0
	v_add_co_u32 v10, s0, v8, s6
	s_delay_alu instid0(VALU_DEP_1) | instskip(NEXT) | instid1(VALU_DEP_2)
	v_add_co_ci_u32_e64 v11, s0, s7, v9, s0
	v_add_co_u32 v38, s0, v10, s6
	s_delay_alu instid0(VALU_DEP_1) | instskip(NEXT) | instid1(VALU_DEP_2)
	v_add_co_ci_u32_e64 v39, s0, s7, v11, s0
	v_add_co_u32 v0, s0, v38, s6
	s_delay_alu instid0(VALU_DEP_1)
	v_add_co_ci_u32_e64 v1, s0, s7, v39, s0
	global_store_b128 v[6:7], v[16:19], off
	global_store_b128 v[8:9], v[22:25], off
	;; [unrolled: 1-line block ×5, first 2 shown]
	s_and_b32 exec_lo, exec_lo, vcc_lo
	s_cbranch_execz .LBB0_15
; %bb.14:
	scratch_load_b64 v[18:19], off, off offset:4 ; 8-byte Folded Reload
	s_mul_i32 s0, s5, 0xfffff110
	s_delay_alu instid0(SALU_CYCLE_1)
	s_sub_i32 s0, s0, s4
	s_waitcnt vmcnt(0)
	global_load_b128 v[4:7], v[18:19], off offset:208
	ds_load_b128 v[8:11], v168 offset:208
	ds_load_b128 v[12:15], v168 offset:544
	s_waitcnt vmcnt(0) lgkmcnt(1)
	v_mul_f64 v[16:17], v[10:11], v[6:7]
	v_mul_f64 v[6:7], v[8:9], v[6:7]
	s_delay_alu instid0(VALU_DEP_2) | instskip(NEXT) | instid1(VALU_DEP_2)
	v_fma_f64 v[8:9], v[8:9], v[4:5], v[16:17]
	v_fma_f64 v[6:7], v[4:5], v[10:11], -v[6:7]
	s_delay_alu instid0(VALU_DEP_2) | instskip(NEXT) | instid1(VALU_DEP_2)
	v_mul_f64 v[4:5], v[8:9], s[2:3]
	v_mul_f64 v[6:7], v[6:7], s[2:3]
	v_mad_u64_u32 v[8:9], null, 0xfffff110, s4, v[0:1]
	s_delay_alu instid0(VALU_DEP_1)
	v_add_nc_u32_e32 v9, s0, v9
	global_store_b128 v[8:9], v[4:7], off
	global_load_b128 v[4:7], v[18:19], off offset:544
	s_waitcnt vmcnt(0) lgkmcnt(0)
	v_mul_f64 v[0:1], v[14:15], v[6:7]
	v_mul_f64 v[6:7], v[12:13], v[6:7]
	s_delay_alu instid0(VALU_DEP_2) | instskip(NEXT) | instid1(VALU_DEP_2)
	v_fma_f64 v[0:1], v[12:13], v[4:5], v[0:1]
	v_fma_f64 v[6:7], v[4:5], v[14:15], -v[6:7]
	s_delay_alu instid0(VALU_DEP_2) | instskip(NEXT) | instid1(VALU_DEP_2)
	v_mul_f64 v[4:5], v[0:1], s[2:3]
	v_mul_f64 v[6:7], v[6:7], s[2:3]
	v_add_co_u32 v0, vcc_lo, v8, s6
	v_add_co_ci_u32_e32 v1, vcc_lo, s7, v9, vcc_lo
	global_store_b128 v[0:1], v[4:7], off
	global_load_b128 v[4:7], v[18:19], off offset:880
	ds_load_b128 v[8:11], v168 offset:880
	ds_load_b128 v[12:15], v168 offset:1216
	v_add_co_u32 v0, vcc_lo, v0, s6
	v_add_co_ci_u32_e32 v1, vcc_lo, s7, v1, vcc_lo
	s_waitcnt vmcnt(0) lgkmcnt(1)
	v_mul_f64 v[16:17], v[10:11], v[6:7]
	v_mul_f64 v[6:7], v[8:9], v[6:7]
	s_delay_alu instid0(VALU_DEP_2) | instskip(NEXT) | instid1(VALU_DEP_2)
	v_fma_f64 v[8:9], v[8:9], v[4:5], v[16:17]
	v_fma_f64 v[6:7], v[4:5], v[10:11], -v[6:7]
	s_delay_alu instid0(VALU_DEP_2) | instskip(NEXT) | instid1(VALU_DEP_2)
	v_mul_f64 v[4:5], v[8:9], s[2:3]
	v_mul_f64 v[6:7], v[6:7], s[2:3]
	global_store_b128 v[0:1], v[4:7], off
	global_load_b128 v[4:7], v[18:19], off offset:1216
	v_add_co_u32 v0, vcc_lo, v0, s6
	v_add_co_ci_u32_e32 v1, vcc_lo, s7, v1, vcc_lo
	s_waitcnt vmcnt(0) lgkmcnt(0)
	v_mul_f64 v[8:9], v[14:15], v[6:7]
	v_mul_f64 v[6:7], v[12:13], v[6:7]
	s_delay_alu instid0(VALU_DEP_2) | instskip(NEXT) | instid1(VALU_DEP_2)
	v_fma_f64 v[8:9], v[12:13], v[4:5], v[8:9]
	v_fma_f64 v[6:7], v[4:5], v[14:15], -v[6:7]
	s_delay_alu instid0(VALU_DEP_2) | instskip(NEXT) | instid1(VALU_DEP_2)
	v_mul_f64 v[4:5], v[8:9], s[2:3]
	v_mul_f64 v[6:7], v[6:7], s[2:3]
	global_store_b128 v[0:1], v[4:7], off
	global_load_b128 v[4:7], v[18:19], off offset:1552
	ds_load_b128 v[8:11], v168 offset:1552
	ds_load_b128 v[12:15], v168 offset:1888
	v_add_co_u32 v0, vcc_lo, v0, s6
	v_add_co_ci_u32_e32 v1, vcc_lo, s7, v1, vcc_lo
	s_waitcnt vmcnt(0) lgkmcnt(1)
	v_mul_f64 v[16:17], v[10:11], v[6:7]
	v_mul_f64 v[6:7], v[8:9], v[6:7]
	s_delay_alu instid0(VALU_DEP_2) | instskip(NEXT) | instid1(VALU_DEP_2)
	v_fma_f64 v[8:9], v[8:9], v[4:5], v[16:17]
	v_fma_f64 v[6:7], v[4:5], v[10:11], -v[6:7]
	s_delay_alu instid0(VALU_DEP_2) | instskip(NEXT) | instid1(VALU_DEP_2)
	v_mul_f64 v[4:5], v[8:9], s[2:3]
	v_mul_f64 v[6:7], v[6:7], s[2:3]
	global_store_b128 v[0:1], v[4:7], off
	global_load_b128 v[4:7], v[18:19], off offset:1888
	v_add_co_u32 v0, vcc_lo, v0, s6
	v_add_co_ci_u32_e32 v1, vcc_lo, s7, v1, vcc_lo
	s_waitcnt vmcnt(0) lgkmcnt(0)
	v_mul_f64 v[8:9], v[14:15], v[6:7]
	v_mul_f64 v[6:7], v[12:13], v[6:7]
	s_delay_alu instid0(VALU_DEP_2) | instskip(NEXT) | instid1(VALU_DEP_2)
	v_fma_f64 v[8:9], v[12:13], v[4:5], v[8:9]
	v_fma_f64 v[6:7], v[4:5], v[14:15], -v[6:7]
	s_delay_alu instid0(VALU_DEP_2) | instskip(NEXT) | instid1(VALU_DEP_2)
	v_mul_f64 v[4:5], v[8:9], s[2:3]
	v_mul_f64 v[6:7], v[6:7], s[2:3]
	global_store_b128 v[0:1], v[4:7], off
	global_load_b128 v[4:7], v[18:19], off offset:2224
	ds_load_b128 v[8:11], v168 offset:2224
	ds_load_b128 v[12:15], v168 offset:2560
	s_waitcnt vmcnt(0) lgkmcnt(1)
	v_mul_f64 v[16:17], v[10:11], v[6:7]
	v_mul_f64 v[6:7], v[8:9], v[6:7]
	s_delay_alu instid0(VALU_DEP_2) | instskip(NEXT) | instid1(VALU_DEP_2)
	v_fma_f64 v[8:9], v[8:9], v[4:5], v[16:17]
	v_fma_f64 v[6:7], v[4:5], v[10:11], -v[6:7]
	v_add_co_u32 v16, vcc_lo, v0, s6
	v_add_co_ci_u32_e32 v17, vcc_lo, s7, v1, vcc_lo
	scratch_load_b32 v11, off, off offset:100 ; 4-byte Folded Reload
	v_mul_f64 v[4:5], v[8:9], s[2:3]
	v_mul_f64 v[6:7], v[6:7], s[2:3]
	global_store_b128 v[16:17], v[4:7], off
	global_load_b128 v[4:7], v[18:19], off offset:2560
	s_waitcnt vmcnt(1)
	v_mad_u64_u32 v[8:9], null, s4, v11, 0
	s_waitcnt vmcnt(0) lgkmcnt(0)
	v_mul_f64 v[0:1], v[14:15], v[6:7]
	v_mul_f64 v[6:7], v[12:13], v[6:7]
	s_delay_alu instid0(VALU_DEP_2) | instskip(NEXT) | instid1(VALU_DEP_2)
	v_fma_f64 v[0:1], v[12:13], v[4:5], v[0:1]
	v_fma_f64 v[6:7], v[4:5], v[14:15], -v[6:7]
	s_delay_alu instid0(VALU_DEP_2) | instskip(NEXT) | instid1(VALU_DEP_2)
	v_mul_f64 v[4:5], v[0:1], s[2:3]
	v_mul_f64 v[6:7], v[6:7], s[2:3]
	v_mov_b32_e32 v0, v9
	s_delay_alu instid0(VALU_DEP_1) | instskip(NEXT) | instid1(VALU_DEP_1)
	v_mad_u64_u32 v[9:10], null, s5, v11, v[0:1]
	v_lshlrev_b64 v[0:1], 4, v[8:9]
	s_delay_alu instid0(VALU_DEP_1) | instskip(NEXT) | instid1(VALU_DEP_2)
	v_add_co_u32 v0, vcc_lo, v2, v0
	v_add_co_ci_u32_e32 v1, vcc_lo, v3, v1, vcc_lo
	global_store_b128 v[0:1], v[4:7], off
	global_load_b128 v[0:3], v[18:19], off offset:2896
	ds_load_b128 v[4:7], v168 offset:2896
	ds_load_b128 v[8:11], v168 offset:3232
	s_waitcnt vmcnt(0) lgkmcnt(1)
	v_mul_f64 v[12:13], v[6:7], v[2:3]
	v_mul_f64 v[2:3], v[4:5], v[2:3]
	s_delay_alu instid0(VALU_DEP_2) | instskip(NEXT) | instid1(VALU_DEP_2)
	v_fma_f64 v[4:5], v[4:5], v[0:1], v[12:13]
	v_fma_f64 v[2:3], v[0:1], v[6:7], -v[2:3]
	s_delay_alu instid0(VALU_DEP_2) | instskip(NEXT) | instid1(VALU_DEP_2)
	v_mul_f64 v[0:1], v[4:5], s[2:3]
	v_mul_f64 v[2:3], v[2:3], s[2:3]
	v_mad_u64_u32 v[4:5], null, 0x2a0, s4, v[16:17]
	s_delay_alu instid0(VALU_DEP_1) | instskip(NEXT) | instid1(VALU_DEP_2)
	v_mad_u64_u32 v[6:7], null, 0x2a0, s5, v[5:6]
	v_add_co_u32 v12, vcc_lo, v4, s6
	s_delay_alu instid0(VALU_DEP_2) | instskip(NEXT) | instid1(VALU_DEP_1)
	v_mov_b32_e32 v5, v6
	v_add_co_ci_u32_e32 v13, vcc_lo, s7, v5, vcc_lo
	global_store_b128 v[4:5], v[0:3], off
	global_load_b128 v[0:3], v[18:19], off offset:3232
	s_waitcnt vmcnt(0) lgkmcnt(0)
	v_mul_f64 v[6:7], v[10:11], v[2:3]
	v_mul_f64 v[2:3], v[8:9], v[2:3]
	s_delay_alu instid0(VALU_DEP_2) | instskip(NEXT) | instid1(VALU_DEP_2)
	v_fma_f64 v[6:7], v[8:9], v[0:1], v[6:7]
	v_fma_f64 v[2:3], v[0:1], v[10:11], -v[2:3]
	s_delay_alu instid0(VALU_DEP_2) | instskip(NEXT) | instid1(VALU_DEP_2)
	v_mul_f64 v[0:1], v[6:7], s[2:3]
	v_mul_f64 v[2:3], v[2:3], s[2:3]
	global_store_b128 v[12:13], v[0:3], off
	global_load_b128 v[0:3], v[18:19], off offset:3568
	ds_load_b128 v[4:7], v168 offset:3568
	ds_load_b128 v[8:11], v168 offset:3904
	s_waitcnt vmcnt(0) lgkmcnt(1)
	v_mul_f64 v[14:15], v[6:7], v[2:3]
	v_mul_f64 v[2:3], v[4:5], v[2:3]
	s_delay_alu instid0(VALU_DEP_2) | instskip(NEXT) | instid1(VALU_DEP_2)
	v_fma_f64 v[4:5], v[4:5], v[0:1], v[14:15]
	v_fma_f64 v[2:3], v[0:1], v[6:7], -v[2:3]
	s_delay_alu instid0(VALU_DEP_2) | instskip(NEXT) | instid1(VALU_DEP_2)
	v_mul_f64 v[0:1], v[4:5], s[2:3]
	v_mul_f64 v[2:3], v[2:3], s[2:3]
	v_add_co_u32 v4, vcc_lo, v12, s6
	v_add_co_ci_u32_e32 v5, vcc_lo, s7, v13, vcc_lo
	global_store_b128 v[4:5], v[0:3], off
	global_load_b128 v[0:3], v[18:19], off offset:3904
	s_waitcnt vmcnt(0) lgkmcnt(0)
	v_mul_f64 v[6:7], v[10:11], v[2:3]
	v_mul_f64 v[2:3], v[8:9], v[2:3]
	s_delay_alu instid0(VALU_DEP_2) | instskip(NEXT) | instid1(VALU_DEP_2)
	v_fma_f64 v[6:7], v[8:9], v[0:1], v[6:7]
	v_fma_f64 v[2:3], v[0:1], v[10:11], -v[2:3]
	v_add_co_u32 v8, vcc_lo, v4, s6
	v_add_co_ci_u32_e32 v9, vcc_lo, s7, v5, vcc_lo
	s_delay_alu instid0(VALU_DEP_4) | instskip(NEXT) | instid1(VALU_DEP_4)
	v_mul_f64 v[0:1], v[6:7], s[2:3]
	v_mul_f64 v[2:3], v[2:3], s[2:3]
	ds_load_b128 v[4:7], v168 offset:4240
	global_store_b128 v[8:9], v[0:3], off
	scratch_load_b64 v[0:1], off, off offset:488 ; 8-byte Folded Reload
	s_waitcnt vmcnt(0)
	global_load_b128 v[0:3], v[0:1], off offset:144
	s_waitcnt vmcnt(0) lgkmcnt(0)
	v_mul_f64 v[10:11], v[6:7], v[2:3]
	v_mul_f64 v[2:3], v[4:5], v[2:3]
	s_delay_alu instid0(VALU_DEP_2) | instskip(NEXT) | instid1(VALU_DEP_2)
	v_fma_f64 v[4:5], v[4:5], v[0:1], v[10:11]
	v_fma_f64 v[2:3], v[0:1], v[6:7], -v[2:3]
	s_delay_alu instid0(VALU_DEP_2) | instskip(NEXT) | instid1(VALU_DEP_2)
	v_mul_f64 v[0:1], v[4:5], s[2:3]
	v_mul_f64 v[2:3], v[2:3], s[2:3]
	v_add_co_u32 v4, vcc_lo, v8, s6
	v_add_co_ci_u32_e32 v5, vcc_lo, s7, v9, vcc_lo
	global_store_b128 v[4:5], v[0:3], off
.LBB0_15:
	s_nop 0
	s_sendmsg sendmsg(MSG_DEALLOC_VGPRS)
	s_endpgm
	.section	.rodata,"a",@progbits
	.p2align	6, 0x0
	.amdhsa_kernel bluestein_single_back_len273_dim1_dp_op_CI_CI
		.amdhsa_group_segment_fixed_size 17472
		.amdhsa_private_segment_fixed_size 512
		.amdhsa_kernarg_size 104
		.amdhsa_user_sgpr_count 15
		.amdhsa_user_sgpr_dispatch_ptr 0
		.amdhsa_user_sgpr_queue_ptr 0
		.amdhsa_user_sgpr_kernarg_segment_ptr 1
		.amdhsa_user_sgpr_dispatch_id 0
		.amdhsa_user_sgpr_private_segment_size 0
		.amdhsa_wavefront_size32 1
		.amdhsa_uses_dynamic_stack 0
		.amdhsa_enable_private_segment 1
		.amdhsa_system_sgpr_workgroup_id_x 1
		.amdhsa_system_sgpr_workgroup_id_y 0
		.amdhsa_system_sgpr_workgroup_id_z 0
		.amdhsa_system_sgpr_workgroup_info 0
		.amdhsa_system_vgpr_workitem_id 0
		.amdhsa_next_free_vgpr 256
		.amdhsa_next_free_sgpr 46
		.amdhsa_reserve_vcc 1
		.amdhsa_float_round_mode_32 0
		.amdhsa_float_round_mode_16_64 0
		.amdhsa_float_denorm_mode_32 3
		.amdhsa_float_denorm_mode_16_64 3
		.amdhsa_dx10_clamp 1
		.amdhsa_ieee_mode 1
		.amdhsa_fp16_overflow 0
		.amdhsa_workgroup_processor_mode 1
		.amdhsa_memory_ordered 1
		.amdhsa_forward_progress 0
		.amdhsa_shared_vgpr_count 0
		.amdhsa_exception_fp_ieee_invalid_op 0
		.amdhsa_exception_fp_denorm_src 0
		.amdhsa_exception_fp_ieee_div_zero 0
		.amdhsa_exception_fp_ieee_overflow 0
		.amdhsa_exception_fp_ieee_underflow 0
		.amdhsa_exception_fp_ieee_inexact 0
		.amdhsa_exception_int_div_zero 0
	.end_amdhsa_kernel
	.text
.Lfunc_end0:
	.size	bluestein_single_back_len273_dim1_dp_op_CI_CI, .Lfunc_end0-bluestein_single_back_len273_dim1_dp_op_CI_CI
                                        ; -- End function
	.section	.AMDGPU.csdata,"",@progbits
; Kernel info:
; codeLenInByte = 35248
; NumSgprs: 48
; NumVgprs: 256
; ScratchSize: 512
; MemoryBound: 0
; FloatMode: 240
; IeeeMode: 1
; LDSByteSize: 17472 bytes/workgroup (compile time only)
; SGPRBlocks: 5
; VGPRBlocks: 31
; NumSGPRsForWavesPerEU: 48
; NumVGPRsForWavesPerEU: 256
; Occupancy: 4
; WaveLimiterHint : 1
; COMPUTE_PGM_RSRC2:SCRATCH_EN: 1
; COMPUTE_PGM_RSRC2:USER_SGPR: 15
; COMPUTE_PGM_RSRC2:TRAP_HANDLER: 0
; COMPUTE_PGM_RSRC2:TGID_X_EN: 1
; COMPUTE_PGM_RSRC2:TGID_Y_EN: 0
; COMPUTE_PGM_RSRC2:TGID_Z_EN: 0
; COMPUTE_PGM_RSRC2:TIDIG_COMP_CNT: 0
	.text
	.p2alignl 7, 3214868480
	.fill 96, 4, 3214868480
	.type	__hip_cuid_40948af7d83f1d29,@object ; @__hip_cuid_40948af7d83f1d29
	.section	.bss,"aw",@nobits
	.globl	__hip_cuid_40948af7d83f1d29
__hip_cuid_40948af7d83f1d29:
	.byte	0                               ; 0x0
	.size	__hip_cuid_40948af7d83f1d29, 1

	.ident	"AMD clang version 19.0.0git (https://github.com/RadeonOpenCompute/llvm-project roc-6.4.0 25133 c7fe45cf4b819c5991fe208aaa96edf142730f1d)"
	.section	".note.GNU-stack","",@progbits
	.addrsig
	.addrsig_sym __hip_cuid_40948af7d83f1d29
	.amdgpu_metadata
---
amdhsa.kernels:
  - .args:
      - .actual_access:  read_only
        .address_space:  global
        .offset:         0
        .size:           8
        .value_kind:     global_buffer
      - .actual_access:  read_only
        .address_space:  global
        .offset:         8
        .size:           8
        .value_kind:     global_buffer
      - .actual_access:  read_only
        .address_space:  global
        .offset:         16
        .size:           8
        .value_kind:     global_buffer
      - .actual_access:  read_only
        .address_space:  global
        .offset:         24
        .size:           8
        .value_kind:     global_buffer
      - .actual_access:  read_only
        .address_space:  global
        .offset:         32
        .size:           8
        .value_kind:     global_buffer
      - .offset:         40
        .size:           8
        .value_kind:     by_value
      - .address_space:  global
        .offset:         48
        .size:           8
        .value_kind:     global_buffer
      - .address_space:  global
        .offset:         56
        .size:           8
        .value_kind:     global_buffer
      - .address_space:  global
        .offset:         64
        .size:           8
        .value_kind:     global_buffer
      - .address_space:  global
        .offset:         72
        .size:           8
        .value_kind:     global_buffer
      - .offset:         80
        .size:           4
        .value_kind:     by_value
      - .address_space:  global
        .offset:         88
        .size:           8
        .value_kind:     global_buffer
      - .address_space:  global
        .offset:         96
        .size:           8
        .value_kind:     global_buffer
    .group_segment_fixed_size: 17472
    .kernarg_segment_align: 8
    .kernarg_segment_size: 104
    .language:       OpenCL C
    .language_version:
      - 2
      - 0
    .max_flat_workgroup_size: 52
    .name:           bluestein_single_back_len273_dim1_dp_op_CI_CI
    .private_segment_fixed_size: 512
    .sgpr_count:     48
    .sgpr_spill_count: 0
    .symbol:         bluestein_single_back_len273_dim1_dp_op_CI_CI.kd
    .uniform_work_group_size: 1
    .uses_dynamic_stack: false
    .vgpr_count:     256
    .vgpr_spill_count: 169
    .wavefront_size: 32
    .workgroup_processor_mode: 1
amdhsa.target:   amdgcn-amd-amdhsa--gfx1100
amdhsa.version:
  - 1
  - 2
...

	.end_amdgpu_metadata
